;; amdgpu-corpus repo=ROCm/rocFFT kind=compiled arch=gfx1100 opt=O3
	.text
	.amdgcn_target "amdgcn-amd-amdhsa--gfx1100"
	.amdhsa_code_object_version 6
	.protected	bluestein_single_fwd_len484_dim1_dp_op_CI_CI ; -- Begin function bluestein_single_fwd_len484_dim1_dp_op_CI_CI
	.globl	bluestein_single_fwd_len484_dim1_dp_op_CI_CI
	.p2align	8
	.type	bluestein_single_fwd_len484_dim1_dp_op_CI_CI,@function
bluestein_single_fwd_len484_dim1_dp_op_CI_CI: ; @bluestein_single_fwd_len484_dim1_dp_op_CI_CI
; %bb.0:
	s_load_b128 s[8:11], s[0:1], 0x28
	v_mul_u32_u24_e32 v1, 0x5d2, v0
	s_mov_b32 s2, exec_lo
	v_mov_b32_e32 v3, 0
	s_delay_alu instid0(VALU_DEP_2) | instskip(NEXT) | instid1(VALU_DEP_1)
	v_lshrrev_b32_e32 v1, 16, v1
	v_add_nc_u32_e32 v2, s15, v1
	s_waitcnt lgkmcnt(0)
	s_delay_alu instid0(VALU_DEP_1)
	v_cmpx_gt_u64_e64 s[8:9], v[2:3]
	s_cbranch_execz .LBB0_15
; %bb.1:
	s_clause 0x1
	s_load_b128 s[4:7], s[0:1], 0x18
	s_load_b64 s[2:3], s[0:1], 0x0
	v_mul_lo_u16 v1, v1, 44
	s_delay_alu instid0(VALU_DEP_1) | instskip(NEXT) | instid1(VALU_DEP_1)
	v_sub_nc_u16 v0, v0, v1
	v_dual_mov_b32 v1, v2 :: v_dual_and_b32 v14, 0xffff, v0
	s_waitcnt lgkmcnt(0)
	s_load_b128 s[12:15], s[4:5], 0x0
	s_waitcnt lgkmcnt(0)
	v_mad_u64_u32 v[24:25], null, s14, v2, 0
	v_mad_u64_u32 v[26:27], null, s12, v14, 0
	s_mul_hi_u32 s5, s12, 0x79
	s_mul_hi_u32 s9, s12, 0xfffffec1
	s_mul_i32 s8, s13, 0xfffffec1
	s_delay_alu instid0(VALU_DEP_1) | instskip(SKIP_1) | instid1(VALU_DEP_2)
	v_dual_mov_b32 v12, v25 :: v_dual_mov_b32 v13, v27
	v_lshlrev_b32_e32 v187, 4, v14
	v_mad_u64_u32 v[27:28], null, s15, v2, v[12:13]
	v_mad_u64_u32 v[28:29], null, s13, v14, v[13:14]
	s_delay_alu instid0(VALU_DEP_3) | instskip(NEXT) | instid1(VALU_DEP_1)
	v_add_co_u32 v3, s4, s2, v187
	v_add_co_ci_u32_e64 v4, null, s3, 0, s4
	s_delay_alu instid0(VALU_DEP_4) | instskip(NEXT) | instid1(VALU_DEP_3)
	v_mov_b32_e32 v25, v27
	v_add_co_u32 v5, vcc_lo, 0x1000, v3
	v_mov_b32_e32 v27, v28
	s_delay_alu instid0(VALU_DEP_4) | instskip(NEXT) | instid1(VALU_DEP_4)
	v_add_co_ci_u32_e32 v6, vcc_lo, 0, v4, vcc_lo
	v_lshlrev_b64 v[24:25], 4, v[24:25]
	global_load_b128 v[7:10], v187, s[2:3] offset:3872
	v_lshlrev_b64 v[26:27], 4, v[26:27]
	s_clause 0x1
	global_load_b128 v[15:18], v187, s[2:3]
	global_load_b128 v[19:22], v187, s[2:3] offset:704
	scratch_store_b64 off, v[1:2], off offset:24 ; 8-byte Folded Spill
	s_clause 0x2
	global_load_b128 v[98:101], v187, s[2:3] offset:1936
	global_load_b128 v[102:105], v187, s[2:3] offset:2640
	global_load_b128 v[106:109], v[5:6], off offset:1712
	v_add_co_u32 v1, vcc_lo, s10, v24
	v_add_co_ci_u32_e32 v2, vcc_lo, s11, v25, vcc_lo
	s_mul_i32 s3, s13, 0x79
	s_delay_alu instid0(VALU_DEP_2)
	v_add_co_u32 v24, vcc_lo, v1, v26
	s_mul_i32 s2, s12, 0x79
	s_add_i32 s3, s5, s3
	v_add_co_ci_u32_e32 v25, vcc_lo, v2, v27, vcc_lo
	s_lshl_b64 s[10:11], s[2:3], 4
	s_sub_i32 s5, s9, s12
	v_add_co_u32 v26, vcc_lo, v24, s10
	s_delay_alu instid0(VALU_DEP_2) | instskip(SKIP_1) | instid1(VALU_DEP_2)
	v_add_co_ci_u32_e32 v27, vcc_lo, s11, v25, vcc_lo
	s_mul_i32 s4, s12, 0xfffffec1
	v_add_co_u32 v28, vcc_lo, v26, s10
	s_delay_alu instid0(VALU_DEP_2) | instskip(SKIP_1) | instid1(VALU_DEP_2)
	v_add_co_ci_u32_e32 v29, vcc_lo, s11, v27, vcc_lo
	s_add_i32 s5, s5, s8
	v_add_co_u32 v30, vcc_lo, v28, s10
	s_delay_alu instid0(VALU_DEP_2)
	v_add_co_ci_u32_e32 v31, vcc_lo, s11, v29, vcc_lo
	s_lshl_b64 s[2:3], s[4:5], 4
	s_clause 0x1
	global_load_b128 v[34:37], v[24:25], off
	global_load_b128 v[38:41], v[26:27], off
	v_add_co_u32 v24, vcc_lo, v30, s2
	v_add_co_ci_u32_e32 v25, vcc_lo, s3, v31, vcc_lo
	s_clause 0x1
	global_load_b128 v[42:45], v[28:29], off
	global_load_b128 v[46:49], v[30:31], off
	v_add_co_u32 v26, vcc_lo, v24, s10
	v_add_co_ci_u32_e32 v27, vcc_lo, s11, v25, vcc_lo
	global_load_b128 v[50:53], v[24:25], off
	v_add_co_u32 v28, vcc_lo, v26, s10
	v_add_co_ci_u32_e32 v29, vcc_lo, s11, v27, vcc_lo
	global_load_b128 v[54:57], v[26:27], off
	v_add_co_u32 v32, vcc_lo, v28, s10
	v_add_co_ci_u32_e32 v33, vcc_lo, s11, v29, vcc_lo
	global_load_b128 v[23:26], v[5:6], off offset:480
	global_load_b128 v[58:61], v[28:29], off
	global_load_b128 v[27:30], v[5:6], off offset:2416
	global_load_b128 v[62:65], v[32:33], off
	v_cmp_gt_u16_e32 vcc_lo, 33, v0
	s_waitcnt vmcnt(15)
	scratch_store_b128 off, v[7:10], off offset:40 ; 16-byte Folded Spill
	s_waitcnt vmcnt(14)
	scratch_store_b128 off, v[15:18], off offset:56 ; 16-byte Folded Spill
	s_waitcnt vmcnt(12)
	s_clause 0x1
	scratch_store_b128 off, v[98:101], off offset:88
	scratch_store_b128 off, v[19:22], off offset:72
	s_waitcnt vmcnt(11)
	scratch_store_b128 off, v[102:105], off offset:104 ; 16-byte Folded Spill
	s_waitcnt vmcnt(10)
	scratch_store_b128 off, v[106:109], off offset:120 ; 16-byte Folded Spill
	s_waitcnt vmcnt(9)
	v_mul_f64 v[66:67], v[36:37], v[17:18]
	v_mul_f64 v[68:69], v[34:35], v[17:18]
	s_waitcnt vmcnt(8)
	v_mul_f64 v[70:71], v[40:41], v[100:101]
	v_mul_f64 v[72:73], v[38:39], v[100:101]
	;; [unrolled: 3-line block ×6, first 2 shown]
	s_waitcnt vmcnt(3)
	scratch_store_b128 off, v[23:26], off offset:136 ; 16-byte Folded Spill
	s_waitcnt vmcnt(2)
	v_mul_f64 v[90:91], v[60:61], v[25:26]
	s_waitcnt vmcnt(1)
	scratch_store_b128 off, v[27:30], off offset:152 ; 16-byte Folded Spill
	v_mul_f64 v[92:93], v[58:59], v[25:26]
	s_waitcnt vmcnt(0)
	v_mul_f64 v[94:95], v[64:65], v[29:30]
	v_mul_f64 v[96:97], v[62:63], v[29:30]
	s_load_b64 s[8:9], s[0:1], 0x38
	s_load_b128 s[4:7], s[6:7], 0x0
	v_fma_f64 v[34:35], v[34:35], v[15:16], v[66:67]
	v_fma_f64 v[36:37], v[36:37], v[15:16], -v[68:69]
	v_fma_f64 v[38:39], v[38:39], v[98:99], v[70:71]
	v_fma_f64 v[40:41], v[40:41], v[98:99], -v[72:73]
	;; [unrolled: 2-line block ×6, first 2 shown]
	ds_store_b128 v187, v[34:37]
	ds_store_b128 v187, v[50:53] offset:704
	ds_store_b128 v187, v[38:41] offset:1936
	;; [unrolled: 1-line block ×3, first 2 shown]
	v_fma_f64 v[58:59], v[58:59], v[23:24], v[90:91]
	v_fma_f64 v[60:61], v[60:61], v[23:24], -v[92:93]
	v_fma_f64 v[62:63], v[62:63], v[27:28], v[94:95]
	v_fma_f64 v[64:65], v[64:65], v[27:28], -v[96:97]
	ds_store_b128 v187, v[42:45] offset:3872
	ds_store_b128 v187, v[58:61] offset:4576
	;; [unrolled: 1-line block ×4, first 2 shown]
	s_and_saveexec_b32 s12, vcc_lo
	s_cbranch_execz .LBB0_3
; %bb.2:
	v_add_co_u32 v36, s2, v32, s2
	s_delay_alu instid0(VALU_DEP_1) | instskip(NEXT) | instid1(VALU_DEP_2)
	v_add_co_ci_u32_e64 v37, s2, s3, v33, s2
	v_add_co_u32 v40, s2, v36, s10
	s_delay_alu instid0(VALU_DEP_1) | instskip(SKIP_2) | instid1(VALU_DEP_1)
	v_add_co_ci_u32_e64 v41, s2, s11, v37, s2
	global_load_b128 v[32:35], v[36:37], off
	v_add_co_u32 v48, s2, v40, s10
	v_add_co_ci_u32_e64 v49, s2, s11, v41, s2
	global_load_b128 v[36:39], v[3:4], off offset:1408
	v_add_co_u32 v60, s2, v48, s10
	global_load_b128 v[40:43], v[40:41], off
	v_add_co_ci_u32_e64 v61, s2, s11, v49, s2
	global_load_b128 v[44:47], v[3:4], off offset:3344
	global_load_b128 v[48:51], v[48:49], off
	s_clause 0x1
	global_load_b128 v[52:55], v[5:6], off offset:1184
	global_load_b128 v[56:59], v[5:6], off offset:3120
	global_load_b128 v[60:63], v[60:61], off
	s_waitcnt vmcnt(6)
	v_mul_f64 v[64:65], v[34:35], v[38:39]
	v_mul_f64 v[38:39], v[32:33], v[38:39]
	s_waitcnt vmcnt(4)
	v_mul_f64 v[66:67], v[42:43], v[46:47]
	v_mul_f64 v[46:47], v[40:41], v[46:47]
	s_waitcnt vmcnt(2)
	v_mul_f64 v[68:69], v[50:51], v[54:55]
	v_mul_f64 v[54:55], v[48:49], v[54:55]
	s_waitcnt vmcnt(0)
	v_mul_f64 v[70:71], v[62:63], v[58:59]
	v_mul_f64 v[58:59], v[60:61], v[58:59]
	v_fma_f64 v[32:33], v[32:33], v[36:37], v[64:65]
	v_fma_f64 v[34:35], v[34:35], v[36:37], -v[38:39]
	v_fma_f64 v[36:37], v[40:41], v[44:45], v[66:67]
	v_fma_f64 v[38:39], v[42:43], v[44:45], -v[46:47]
	;; [unrolled: 2-line block ×4, first 2 shown]
	ds_store_b128 v187, v[32:35] offset:1408
	ds_store_b128 v187, v[36:39] offset:3344
	;; [unrolled: 1-line block ×4, first 2 shown]
.LBB0_3:
	s_or_b32 exec_lo, exec_lo, s12
	s_waitcnt lgkmcnt(0)
	s_waitcnt_vscnt null, 0x0
	s_barrier
	buffer_gl0_inv
	ds_load_b128 v[44:47], v187
	ds_load_b128 v[48:51], v187 offset:704
	ds_load_b128 v[56:59], v187 offset:1936
	;; [unrolled: 1-line block ×7, first 2 shown]
	s_load_b64 s[24:25], s[0:1], 0x8
                                        ; implicit-def: $vgpr32_vgpr33
                                        ; implicit-def: $vgpr60_vgpr61
                                        ; implicit-def: $vgpr40_vgpr41
                                        ; implicit-def: $vgpr36_vgpr37
	s_and_saveexec_b32 s0, vcc_lo
	s_cbranch_execz .LBB0_5
; %bb.4:
	ds_load_b128 v[32:35], v187 offset:1408
	ds_load_b128 v[36:39], v187 offset:3344
	;; [unrolled: 1-line block ×4, first 2 shown]
.LBB0_5:
	s_or_b32 exec_lo, exec_lo, s0
	s_waitcnt lgkmcnt(0)
	v_add_f64 v[76:77], v[44:45], -v[76:77]
	v_add_f64 v[78:79], v[46:47], -v[78:79]
	;; [unrolled: 1-line block ×8, first 2 shown]
	s_clause 0x1
	scratch_store_b64 off, v[5:6], off offset:32
	scratch_store_b64 off, v[3:4], off offset:16
	v_fma_f64 v[86:87], v[44:45], 2.0, -v[76:77]
	v_fma_f64 v[88:89], v[46:47], 2.0, -v[78:79]
	;; [unrolled: 1-line block ×8, first 2 shown]
	v_add_f64 v[44:45], v[32:33], -v[40:41]
	v_add_f64 v[56:57], v[80:81], -v[64:65]
	;; [unrolled: 1-line block ×3, first 2 shown]
	v_add_f64 v[54:55], v[78:79], v[72:73]
	v_add_f64 v[64:65], v[86:87], -v[46:47]
	v_add_f64 v[46:47], v[34:35], -v[42:43]
	;; [unrolled: 1-line block ×7, first 2 shown]
	v_add_f64 v[58:59], v[84:85], v[82:83]
	v_fma_f64 v[60:61], v[76:77], 2.0, -v[52:53]
	v_fma_f64 v[62:63], v[78:79], 2.0, -v[54:55]
	;; [unrolled: 1-line block ×6, first 2 shown]
	v_add_f64 v[0:1], v[44:45], -v[50:51]
	v_add_f64 v[2:3], v[46:47], v[48:49]
	v_fma_f64 v[78:79], v[88:89], 2.0, -v[66:67]
	v_fma_f64 v[74:75], v[84:85], 2.0, -v[58:59]
	scratch_store_b128 off, v[0:3], off     ; 16-byte Folded Spill
	v_lshlrev_b16 v0, 2, v14
	v_add_co_u32 v1, null, 0x58, v14
	v_lshlrev_b32_e32 v3, 6, v14
	s_waitcnt_vscnt null, 0x0
	s_delay_alu instid0(VALU_DEP_3)
	v_and_b32_e32 v0, 0xffff, v0
	s_barrier
	buffer_gl0_inv
	v_lshlrev_b32_e32 v2, 4, v0
	v_lshlrev_b32_e32 v0, 6, v1
	scratch_store_b32 off, v0, off offset:184 ; 4-byte Folded Spill
	ds_store_b128 v2, v[64:67] offset:32
	ds_store_b128 v2, v[52:55] offset:48
	ds_store_b128 v2, v[76:79]
	scratch_store_b32 off, v2, off offset:188 ; 4-byte Folded Spill
	ds_store_b128 v2, v[60:63] offset:16
	ds_store_b128 v3, v[80:83] offset:2816
	;; [unrolled: 1-line block ×4, first 2 shown]
	scratch_store_b32 off, v3, off offset:192 ; 4-byte Folded Spill
	ds_store_b128 v3, v[56:59] offset:2864
	s_and_saveexec_b32 s0, vcc_lo
	s_cbranch_execz .LBB0_7
; %bb.6:
	s_clause 0x1
	scratch_load_b128 v[1:4], off, off
	scratch_load_b32 v0, off, off offset:184
	v_fma_f64 v[52:53], v[34:35], 2.0, -v[46:47]
	v_fma_f64 v[34:35], v[38:39], 2.0, -v[50:51]
	;; [unrolled: 1-line block ×4, first 2 shown]
	s_delay_alu instid0(VALU_DEP_3) | instskip(NEXT) | instid1(VALU_DEP_2)
	v_add_f64 v[34:35], v[52:53], -v[34:35]
	v_add_f64 v[32:33], v[50:51], -v[32:33]
	s_delay_alu instid0(VALU_DEP_2) | instskip(SKIP_2) | instid1(VALU_DEP_3)
	v_fma_f64 v[48:49], v[52:53], 2.0, -v[34:35]
	s_waitcnt vmcnt(1)
	v_fma_f64 v[38:39], v[46:47], 2.0, -v[3:4]
	v_fma_f64 v[46:47], v[50:51], 2.0, -v[32:33]
	;; [unrolled: 1-line block ×3, first 2 shown]
	s_waitcnt vmcnt(0)
	ds_store_b128 v0, v[46:49]
	ds_store_b128 v0, v[36:39] offset:16
	ds_store_b128 v0, v[32:35] offset:32
	;; [unrolled: 1-line block ×3, first 2 shown]
.LBB0_7:
	s_or_b32 exec_lo, exec_lo, s0
	v_and_b32_e32 v120, 3, v14
	s_waitcnt lgkmcnt(0)
	s_waitcnt_vscnt null, 0x0
	s_barrier
	buffer_gl0_inv
	s_mov_b32 s26, 0xf8bb580b
	v_mul_u32_u24_e32 v0, 10, v120
	s_mov_b32 s20, 0x8eee2c13
	s_mov_b32 s18, 0x43842ef
	;; [unrolled: 1-line block ×4, first 2 shown]
	v_lshlrev_b32_e32 v68, 4, v0
	s_mov_b32 s27, 0xbfe14ced
	s_mov_b32 s21, 0xbfed1bb4
	;; [unrolled: 1-line block ×4, first 2 shown]
	s_clause 0x3
	global_load_b128 v[36:39], v68, s[24:25]
	global_load_b128 v[0:3], v68, s[24:25] offset:144
	global_load_b128 v[44:47], v68, s[24:25] offset:16
	;; [unrolled: 1-line block ×3, first 2 shown]
	ds_load_b128 v[52:55], v187 offset:704
	ds_load_b128 v[56:59], v187 offset:7040
	ds_load_b128 v[121:124], v187
	s_mov_b32 s15, 0xbfd207e7
	s_mov_b32 s22, 0x8764f0ba
	;; [unrolled: 1-line block ×19, first 2 shown]
	s_waitcnt vmcnt(3) lgkmcnt(2)
	v_mul_f64 v[60:61], v[54:55], v[38:39]
	v_mul_f64 v[62:63], v[52:53], v[38:39]
	s_waitcnt vmcnt(2) lgkmcnt(1)
	v_mul_f64 v[66:67], v[58:59], v[2:3]
	v_mul_f64 v[64:65], v[56:57], v[2:3]
	scratch_store_b128 off, v[0:3], off offset:168 ; 16-byte Folded Spill
	v_fma_f64 v[114:115], v[52:53], v[36:37], -v[60:61]
	v_fma_f64 v[116:117], v[54:55], v[36:37], v[62:63]
	ds_load_b128 v[52:55], v187 offset:1408
	ds_load_b128 v[60:63], v187 offset:2112
	v_fma_f64 v[78:79], v[56:57], v[0:1], -v[66:67]
	v_fma_f64 v[76:77], v[58:59], v[0:1], v[64:65]
	s_waitcnt vmcnt(1) lgkmcnt(1)
	v_mul_f64 v[56:57], v[54:55], v[46:47]
	s_delay_alu instid0(VALU_DEP_3) | instskip(NEXT) | instid1(VALU_DEP_3)
	v_add_f64 v[131:132], v[114:115], v[78:79]
	v_add_f64 v[151:152], v[116:117], v[76:77]
	s_delay_alu instid0(VALU_DEP_3) | instskip(SKIP_1) | instid1(VALU_DEP_1)
	v_fma_f64 v[84:85], v[52:53], v[44:45], -v[56:57]
	v_mul_f64 v[52:53], v[52:53], v[46:47]
	v_fma_f64 v[86:87], v[54:55], v[44:45], v[52:53]
	ds_load_b128 v[52:55], v187 offset:6336
	ds_load_b128 v[69:72], v187 offset:5632
	s_waitcnt vmcnt(0) lgkmcnt(1)
	v_mul_f64 v[56:57], v[52:53], v[50:51]
	s_delay_alu instid0(VALU_DEP_1) | instskip(SKIP_1) | instid1(VALU_DEP_2)
	v_fma_f64 v[80:81], v[54:55], v[48:49], v[56:57]
	v_mul_f64 v[54:55], v[54:55], v[50:51]
	v_add_f64 v[175:176], v[86:87], -v[80:81]
	s_delay_alu instid0(VALU_DEP_2)
	v_fma_f64 v[82:83], v[52:53], v[48:49], -v[54:55]
	s_clause 0x1
	global_load_b128 v[56:59], v68, s[24:25] offset:32
	global_load_b128 v[52:55], v68, s[24:25] offset:48
	v_add_f64 v[183:184], v[86:87], v[80:81]
	v_mul_f64 v[179:180], v[175:176], s[20:21]
	v_add_f64 v[177:178], v[84:85], v[82:83]
	v_add_f64 v[181:182], v[84:85], -v[82:83]
	v_mul_f64 v[228:229], v[175:176], s[16:17]
	v_mul_f64 v[242:243], v[175:176], s[36:37]
	s_delay_alu instid0(VALU_DEP_3)
	v_mul_f64 v[185:186], v[181:182], s[20:21]
	v_mul_f64 v[230:231], v[181:182], s[16:17]
	;; [unrolled: 1-line block ×4, first 2 shown]
	s_waitcnt vmcnt(1)
	v_mul_f64 v[64:65], v[62:63], v[58:59]
	s_delay_alu instid0(VALU_DEP_1) | instskip(SKIP_1) | instid1(VALU_DEP_1)
	v_fma_f64 v[92:93], v[60:61], v[56:57], -v[64:65]
	v_mul_f64 v[60:61], v[60:61], v[58:59]
	v_fma_f64 v[94:95], v[62:63], v[56:57], v[60:61]
	s_clause 0x1
	global_load_b128 v[64:67], v68, s[24:25] offset:112
	global_load_b128 v[60:63], v68, s[24:25] offset:96
	s_waitcnt vmcnt(1) lgkmcnt(0)
	v_mul_f64 v[73:74], v[69:70], v[66:67]
	s_delay_alu instid0(VALU_DEP_1) | instskip(SKIP_1) | instid1(VALU_DEP_2)
	v_fma_f64 v[88:89], v[71:72], v[64:65], v[73:74]
	v_mul_f64 v[71:72], v[71:72], v[66:67]
	v_add_f64 v[192:193], v[94:95], -v[88:89]
	s_delay_alu instid0(VALU_DEP_2)
	v_fma_f64 v[90:91], v[69:70], v[64:65], -v[71:72]
	ds_load_b128 v[69:72], v187 offset:2816
	ds_load_b128 v[102:105], v187 offset:3520
	v_add_f64 v[200:201], v[94:95], v[88:89]
	s_waitcnt lgkmcnt(1)
	v_mul_f64 v[73:74], v[71:72], v[54:55]
	v_mul_f64 v[196:197], v[192:193], s[18:19]
	v_add_f64 v[194:195], v[92:93], v[90:91]
	v_add_f64 v[198:199], v[92:93], -v[90:91]
	v_mul_f64 v[246:247], v[192:193], s[30:31]
	v_fma_f64 v[96:97], v[69:70], v[52:53], -v[73:74]
	v_mul_f64 v[69:70], v[69:70], v[54:55]
	s_delay_alu instid0(VALU_DEP_4)
	v_mul_f64 v[202:203], v[198:199], s[18:19]
	v_mul_f64 v[232:233], v[198:199], s[36:37]
	;; [unrolled: 1-line block ×4, first 2 shown]
	v_fma_f64 v[98:99], v[71:72], v[52:53], v[69:70]
	s_clause 0x1
	global_load_b128 v[72:75], v68, s[24:25] offset:64
	global_load_b128 v[68:71], v68, s[24:25] offset:80
	ds_load_b128 v[106:109], v187 offset:4224
	ds_load_b128 v[110:113], v187 offset:4928
	s_waitcnt vmcnt(0) lgkmcnt(0)
	s_waitcnt_vscnt null, 0x0
	s_barrier
	buffer_gl0_inv
	v_mul_f64 v[100:101], v[104:105], v[74:75]
	s_delay_alu instid0(VALU_DEP_1) | instskip(SKIP_1) | instid1(VALU_DEP_1)
	v_fma_f64 v[100:101], v[102:103], v[72:73], -v[100:101]
	v_mul_f64 v[102:103], v[102:103], v[74:75]
	v_fma_f64 v[102:103], v[104:105], v[72:73], v[102:103]
	v_mul_f64 v[104:105], v[108:109], v[70:71]
	s_delay_alu instid0(VALU_DEP_1) | instskip(SKIP_1) | instid1(VALU_DEP_2)
	v_fma_f64 v[104:105], v[106:107], v[68:69], -v[104:105]
	v_mul_f64 v[106:107], v[106:107], v[70:71]
	v_add_f64 v[218:219], v[100:101], v[104:105]
	s_delay_alu instid0(VALU_DEP_2) | instskip(SKIP_2) | instid1(VALU_DEP_3)
	v_fma_f64 v[106:107], v[108:109], v[68:69], v[106:107]
	v_mul_f64 v[108:109], v[112:113], v[62:63]
	v_add_f64 v[222:223], v[100:101], -v[104:105]
	v_add_f64 v[216:217], v[102:103], -v[106:107]
	s_delay_alu instid0(VALU_DEP_3)
	v_fma_f64 v[108:109], v[110:111], v[60:61], -v[108:109]
	v_mul_f64 v[110:111], v[110:111], v[62:63]
	v_add_f64 v[224:225], v[102:103], v[106:107]
	v_mul_f64 v[226:227], v[222:223], s[14:15]
	v_mul_f64 v[240:241], v[222:223], s[28:29]
	;; [unrolled: 1-line block ×4, first 2 shown]
	v_add_f64 v[206:207], v[96:97], v[108:109]
	v_fma_f64 v[110:111], v[112:113], v[60:61], v[110:111]
	v_add_f64 v[112:113], v[116:117], -v[76:77]
	v_add_f64 v[210:211], v[96:97], -v[108:109]
	v_mul_f64 v[238:239], v[216:217], s[28:29]
	v_mul_f64 v[254:255], v[216:217], s[16:17]
	;; [unrolled: 1-line block ×3, first 2 shown]
	v_add_f64 v[204:205], v[98:99], -v[110:111]
	v_mul_f64 v[118:119], v[112:113], s[26:27]
	v_mul_f64 v[125:126], v[112:113], s[20:21]
	v_mul_f64 v[127:128], v[112:113], s[18:19]
	v_mul_f64 v[129:130], v[112:113], s[16:17]
	v_mul_f64 v[112:113], v[112:113], s[14:15]
	v_add_f64 v[212:213], v[98:99], v[110:111]
	v_mul_f64 v[214:215], v[210:211], s[16:17]
	v_mul_f64 v[236:237], v[210:211], s[34:35]
	;; [unrolled: 1-line block ×4, first 2 shown]
	v_fma_f64 v[10:11], v[218:219], s[10:11], -v[8:9]
	v_mul_f64 v[208:209], v[204:205], s[16:17]
	v_fma_f64 v[133:134], v[131:132], s[22:23], -v[118:119]
	v_fma_f64 v[135:136], v[131:132], s[22:23], v[118:119]
	v_fma_f64 v[137:138], v[131:132], s[10:11], -v[125:126]
	v_fma_f64 v[125:126], v[131:132], s[10:11], v[125:126]
	v_fma_f64 v[139:140], v[131:132], s[12:13], -v[127:128]
	v_fma_f64 v[127:128], v[131:132], s[12:13], v[127:128]
	v_fma_f64 v[141:142], v[131:132], s[2:3], -v[129:130]
	v_fma_f64 v[129:130], v[131:132], s[2:3], v[129:130]
	v_fma_f64 v[143:144], v[131:132], s[0:1], -v[112:113]
	v_fma_f64 v[131:132], v[131:132], s[0:1], v[112:113]
	v_add_f64 v[112:113], v[114:115], -v[78:79]
	v_mul_f64 v[234:235], v[204:205], s[34:35]
	v_mul_f64 v[250:251], v[204:205], s[26:27]
	;; [unrolled: 1-line block ×3, first 2 shown]
	v_fma_f64 v[6:7], v[212:213], s[0:1], v[4:5]
	v_fma_f64 v[4:5], v[212:213], s[0:1], -v[4:5]
	v_add_f64 v[137:138], v[121:122], v[137:138]
	v_add_f64 v[139:140], v[121:122], v[139:140]
	;; [unrolled: 1-line block ×5, first 2 shown]
	v_mul_f64 v[118:119], v[112:113], s[26:27]
	v_mul_f64 v[145:146], v[112:113], s[20:21]
	;; [unrolled: 1-line block ×5, first 2 shown]
	v_fma_f64 v[131:132], v[183:184], s[0:1], v[244:245]
	v_fma_f64 v[2:3], v[206:207], s[0:1], -v[0:1]
	v_fma_f64 v[0:1], v[206:207], s[0:1], v[0:1]
	v_fma_f64 v[153:154], v[151:152], s[22:23], v[118:119]
	v_fma_f64 v[155:156], v[151:152], s[22:23], -v[118:119]
	v_fma_f64 v[157:158], v[151:152], s[10:11], v[145:146]
	v_fma_f64 v[145:146], v[151:152], s[10:11], -v[145:146]
	;; [unrolled: 2-line block ×5, first 2 shown]
	v_add_f64 v[112:113], v[121:122], v[114:115]
	v_add_f64 v[114:115], v[123:124], v[116:117]
	;; [unrolled: 1-line block ×14, first 2 shown]
	v_fma_f64 v[121:122], v[177:178], s[10:11], v[179:180]
	v_add_f64 v[149:150], v[123:124], v[149:150]
	v_add_f64 v[169:170], v[123:124], v[169:170]
	;; [unrolled: 1-line block ×3, first 2 shown]
	v_fma_f64 v[123:124], v[183:184], s[10:11], -v[185:186]
	v_fma_f64 v[125:126], v[194:195], s[12:13], v[196:197]
	v_fma_f64 v[127:128], v[183:184], s[2:3], v[230:231]
	v_add_f64 v[131:132], v[131:132], v[145:146]
	v_mul_f64 v[145:146], v[175:176], s[34:35]
	v_add_f64 v[121:122], v[121:122], v[133:134]
	v_fma_f64 v[133:134], v[194:195], s[10:11], -v[246:247]
	v_add_f64 v[123:124], v[123:124], v[135:136]
	v_fma_f64 v[135:136], v[183:184], s[12:13], v[190:191]
	v_add_f64 v[127:128], v[127:128], v[153:154]
	v_mul_f64 v[153:154], v[192:193], s[36:37]
	v_add_f64 v[121:122], v[125:126], v[121:122]
	v_fma_f64 v[125:126], v[200:201], s[12:13], -v[202:203]
	v_add_f64 v[135:136], v[135:136], v[147:148]
	v_mul_f64 v[147:148], v[192:193], s[26:27]
	v_fma_f64 v[129:130], v[194:195], s[0:1], -v[153:154]
	s_delay_alu instid0(VALU_DEP_4) | instskip(SKIP_1) | instid1(VALU_DEP_1)
	v_add_f64 v[123:124], v[125:126], v[123:124]
	v_fma_f64 v[125:126], v[206:207], s[2:3], v[208:209]
	v_add_f64 v[121:122], v[125:126], v[121:122]
	v_fma_f64 v[125:126], v[212:213], s[2:3], -v[214:215]
	s_delay_alu instid0(VALU_DEP_1) | instskip(SKIP_1) | instid1(VALU_DEP_1)
	v_add_f64 v[123:124], v[125:126], v[123:124]
	v_fma_f64 v[125:126], v[218:219], s[0:1], v[220:221]
	v_add_f64 v[121:122], v[125:126], v[121:122]
	v_fma_f64 v[125:126], v[224:225], s[0:1], -v[226:227]
	s_delay_alu instid0(VALU_DEP_1) | instskip(SKIP_1) | instid1(VALU_DEP_1)
	v_add_f64 v[123:124], v[125:126], v[123:124]
	v_fma_f64 v[125:126], v[177:178], s[2:3], -v[228:229]
	v_add_f64 v[125:126], v[125:126], v[137:138]
	v_fma_f64 v[137:138], v[194:195], s[22:23], -v[147:148]
	s_delay_alu instid0(VALU_DEP_2) | instskip(SKIP_1) | instid1(VALU_DEP_1)
	v_add_f64 v[125:126], v[129:130], v[125:126]
	v_fma_f64 v[129:130], v[200:201], s[0:1], v[232:233]
	v_add_f64 v[127:128], v[129:130], v[127:128]
	v_fma_f64 v[129:130], v[206:207], s[12:13], -v[234:235]
	s_delay_alu instid0(VALU_DEP_1) | instskip(SKIP_1) | instid1(VALU_DEP_1)
	v_add_f64 v[125:126], v[129:130], v[125:126]
	v_fma_f64 v[129:130], v[212:213], s[12:13], v[236:237]
	v_add_f64 v[127:128], v[129:130], v[127:128]
	v_fma_f64 v[129:130], v[218:219], s[22:23], -v[238:239]
	s_delay_alu instid0(VALU_DEP_1) | instskip(SKIP_1) | instid1(VALU_DEP_1)
	v_add_f64 v[125:126], v[129:130], v[125:126]
	v_fma_f64 v[129:130], v[224:225], s[22:23], v[240:241]
	v_add_f64 v[127:128], v[129:130], v[127:128]
	v_fma_f64 v[129:130], v[177:178], s[0:1], -v[242:243]
	s_delay_alu instid0(VALU_DEP_1) | instskip(NEXT) | instid1(VALU_DEP_1)
	v_add_f64 v[129:130], v[129:130], v[139:140]
	v_add_f64 v[129:130], v[133:134], v[129:130]
	v_fma_f64 v[133:134], v[200:201], s[10:11], v[248:249]
	s_delay_alu instid0(VALU_DEP_1) | instskip(SKIP_1) | instid1(VALU_DEP_1)
	v_add_f64 v[131:132], v[133:134], v[131:132]
	v_fma_f64 v[133:134], v[206:207], s[22:23], -v[250:251]
	v_add_f64 v[129:130], v[133:134], v[129:130]
	v_fma_f64 v[133:134], v[212:213], s[22:23], v[252:253]
	s_delay_alu instid0(VALU_DEP_1) | instskip(SKIP_1) | instid1(VALU_DEP_1)
	v_add_f64 v[131:132], v[133:134], v[131:132]
	v_fma_f64 v[133:134], v[218:219], s[2:3], -v[254:255]
	;; [unrolled: 5-line block ×3, first 2 shown]
	v_add_f64 v[133:134], v[133:134], v[141:142]
	v_mul_f64 v[141:142], v[181:182], s[28:29]
	v_mul_f64 v[181:182], v[210:211], s[30:31]
	s_delay_alu instid0(VALU_DEP_3) | instskip(SKIP_1) | instid1(VALU_DEP_2)
	v_add_f64 v[133:134], v[137:138], v[133:134]
	v_fma_f64 v[137:138], v[200:201], s[22:23], v[162:163]
	v_add_f64 v[2:3], v[2:3], v[133:134]
	s_delay_alu instid0(VALU_DEP_2) | instskip(SKIP_1) | instid1(VALU_DEP_3)
	v_add_f64 v[135:136], v[137:138], v[135:136]
	v_fma_f64 v[137:138], v[183:184], s[22:23], v[141:142]
	v_add_f64 v[133:134], v[10:11], v[2:3]
	v_mul_f64 v[2:3], v[222:223], s[30:31]
	s_delay_alu instid0(VALU_DEP_4) | instskip(NEXT) | instid1(VALU_DEP_4)
	v_add_f64 v[6:7], v[6:7], v[135:136]
	v_add_f64 v[137:138], v[137:138], v[169:170]
	v_mul_f64 v[169:170], v[198:199], s[16:17]
	v_mul_f64 v[198:199], v[222:223], s[18:19]
	v_fma_f64 v[10:11], v[224:225], s[10:11], v[2:3]
	v_fma_f64 v[2:3], v[224:225], s[10:11], -v[2:3]
	s_delay_alu instid0(VALU_DEP_2) | instskip(SKIP_2) | instid1(VALU_DEP_2)
	v_add_f64 v[135:136], v[10:11], v[6:7]
	v_mul_f64 v[6:7], v[175:176], s[28:29]
	v_mul_f64 v[175:176], v[204:205], s[30:31]
	v_fma_f64 v[10:11], v[177:178], s[22:23], -v[6:7]
	v_fma_f64 v[6:7], v[177:178], s[22:23], v[6:7]
	s_delay_alu instid0(VALU_DEP_2) | instskip(SKIP_2) | instid1(VALU_DEP_4)
	v_add_f64 v[10:11], v[10:11], v[143:144]
	v_mul_f64 v[143:144], v[192:193], s[16:17]
	v_mul_f64 v[192:193], v[216:217], s[18:19]
	v_add_f64 v[6:7], v[6:7], v[173:174]
	s_delay_alu instid0(VALU_DEP_3) | instskip(NEXT) | instid1(VALU_DEP_1)
	v_fma_f64 v[139:140], v[194:195], s[2:3], -v[143:144]
	v_add_f64 v[10:11], v[139:140], v[10:11]
	v_fma_f64 v[139:140], v[200:201], s[2:3], v[169:170]
	s_delay_alu instid0(VALU_DEP_1) | instskip(SKIP_1) | instid1(VALU_DEP_1)
	v_add_f64 v[137:138], v[139:140], v[137:138]
	v_fma_f64 v[139:140], v[206:207], s[10:11], -v[175:176]
	v_add_f64 v[10:11], v[139:140], v[10:11]
	v_fma_f64 v[139:140], v[212:213], s[10:11], v[181:182]
	s_delay_alu instid0(VALU_DEP_1) | instskip(SKIP_1) | instid1(VALU_DEP_1)
	v_add_f64 v[139:140], v[139:140], v[137:138]
	v_fma_f64 v[137:138], v[218:219], s[12:13], -v[192:193]
	v_add_f64 v[137:138], v[137:138], v[10:11]
	v_fma_f64 v[10:11], v[224:225], s[12:13], v[198:199]
	s_delay_alu instid0(VALU_DEP_1) | instskip(SKIP_3) | instid1(VALU_DEP_3)
	v_add_f64 v[139:140], v[10:11], v[139:140]
	v_fma_f64 v[10:11], v[183:184], s[22:23], -v[141:142]
	v_fma_f64 v[141:142], v[194:195], s[2:3], v[143:144]
	v_fma_f64 v[143:144], v[224:225], s[12:13], -v[198:199]
	v_add_f64 v[10:11], v[10:11], v[151:152]
	s_delay_alu instid0(VALU_DEP_3) | instskip(SKIP_1) | instid1(VALU_DEP_1)
	v_add_f64 v[6:7], v[141:142], v[6:7]
	v_fma_f64 v[141:142], v[200:201], s[2:3], -v[169:170]
	v_add_f64 v[10:11], v[141:142], v[10:11]
	v_fma_f64 v[141:142], v[206:207], s[10:11], v[175:176]
	s_delay_alu instid0(VALU_DEP_1) | instskip(SKIP_1) | instid1(VALU_DEP_1)
	v_add_f64 v[6:7], v[141:142], v[6:7]
	v_fma_f64 v[141:142], v[212:213], s[10:11], -v[181:182]
	v_add_f64 v[10:11], v[141:142], v[10:11]
	v_fma_f64 v[141:142], v[218:219], s[12:13], v[192:193]
	s_delay_alu instid0(VALU_DEP_2) | instskip(NEXT) | instid1(VALU_DEP_2)
	v_add_f64 v[143:144], v[143:144], v[10:11]
	v_add_f64 v[141:142], v[141:142], v[6:7]
	v_fma_f64 v[6:7], v[177:178], s[12:13], v[145:146]
	v_fma_f64 v[10:11], v[183:184], s[12:13], -v[190:191]
	v_fma_f64 v[145:146], v[194:195], s[22:23], v[147:148]
	s_delay_alu instid0(VALU_DEP_3) | instskip(NEXT) | instid1(VALU_DEP_3)
	v_add_f64 v[6:7], v[6:7], v[167:168]
	v_add_f64 v[10:11], v[10:11], v[149:150]
	s_delay_alu instid0(VALU_DEP_2) | instskip(SKIP_1) | instid1(VALU_DEP_2)
	v_add_f64 v[6:7], v[145:146], v[6:7]
	v_fma_f64 v[145:146], v[200:201], s[22:23], -v[162:163]
	v_add_f64 v[0:1], v[0:1], v[6:7]
	s_delay_alu instid0(VALU_DEP_2) | instskip(SKIP_2) | instid1(VALU_DEP_3)
	v_add_f64 v[10:11], v[145:146], v[10:11]
	v_fma_f64 v[6:7], v[218:219], s[10:11], v[8:9]
	v_fma_f64 v[8:9], v[206:207], s[2:3], -v[208:209]
	v_add_f64 v[4:5], v[4:5], v[10:11]
	s_delay_alu instid0(VALU_DEP_3)
	v_add_f64 v[145:146], v[6:7], v[0:1]
	v_fma_f64 v[0:1], v[177:178], s[0:1], v[242:243]
	v_fma_f64 v[6:7], v[224:225], s[2:3], -v[188:189]
	v_fma_f64 v[10:11], v[212:213], s[2:3], v[214:215]
	v_add_f64 v[147:148], v[2:3], v[4:5]
	v_fma_f64 v[2:3], v[183:184], s[0:1], -v[244:245]
	v_add_f64 v[0:1], v[0:1], v[165:166]
	v_fma_f64 v[4:5], v[194:195], s[10:11], v[246:247]
	s_delay_alu instid0(VALU_DEP_3) | instskip(NEXT) | instid1(VALU_DEP_2)
	v_add_f64 v[2:3], v[2:3], v[171:172]
	v_add_f64 v[0:1], v[4:5], v[0:1]
	v_fma_f64 v[4:5], v[200:201], s[10:11], -v[248:249]
	s_delay_alu instid0(VALU_DEP_1) | instskip(SKIP_1) | instid1(VALU_DEP_1)
	v_add_f64 v[2:3], v[4:5], v[2:3]
	v_fma_f64 v[4:5], v[206:207], s[22:23], v[250:251]
	v_add_f64 v[0:1], v[4:5], v[0:1]
	v_fma_f64 v[4:5], v[212:213], s[22:23], -v[252:253]
	s_delay_alu instid0(VALU_DEP_1) | instskip(SKIP_2) | instid1(VALU_DEP_3)
	v_add_f64 v[2:3], v[4:5], v[2:3]
	v_fma_f64 v[4:5], v[218:219], s[2:3], v[254:255]
	v_mov_b32_e32 v255, v14
	v_add_f64 v[151:152], v[6:7], v[2:3]
	s_delay_alu instid0(VALU_DEP_3) | instskip(SKIP_4) | instid1(VALU_DEP_4)
	v_add_f64 v[149:150], v[4:5], v[0:1]
	v_fma_f64 v[0:1], v[177:178], s[2:3], v[228:229]
	v_fma_f64 v[2:3], v[183:184], s[2:3], -v[230:231]
	v_fma_f64 v[4:5], v[194:195], s[0:1], v[153:154]
	v_fma_f64 v[6:7], v[224:225], s[22:23], -v[240:241]
	v_add_f64 v[0:1], v[0:1], v[155:156]
	s_delay_alu instid0(VALU_DEP_4) | instskip(NEXT) | instid1(VALU_DEP_2)
	v_add_f64 v[2:3], v[2:3], v[157:158]
	v_add_f64 v[0:1], v[4:5], v[0:1]
	v_fma_f64 v[4:5], v[200:201], s[0:1], -v[232:233]
	s_delay_alu instid0(VALU_DEP_1) | instskip(SKIP_1) | instid1(VALU_DEP_1)
	v_add_f64 v[2:3], v[4:5], v[2:3]
	v_fma_f64 v[4:5], v[206:207], s[12:13], v[234:235]
	v_add_f64 v[0:1], v[4:5], v[0:1]
	v_fma_f64 v[4:5], v[212:213], s[12:13], -v[236:237]
	s_delay_alu instid0(VALU_DEP_1) | instskip(SKIP_1) | instid1(VALU_DEP_2)
	v_add_f64 v[2:3], v[4:5], v[2:3]
	v_fma_f64 v[4:5], v[218:219], s[22:23], v[238:239]
	v_add_f64 v[155:156], v[6:7], v[2:3]
	s_delay_alu instid0(VALU_DEP_2) | instskip(SKIP_4) | instid1(VALU_DEP_4)
	v_add_f64 v[153:154], v[4:5], v[0:1]
	v_fma_f64 v[0:1], v[177:178], s[10:11], -v[179:180]
	v_fma_f64 v[2:3], v[183:184], s[10:11], v[185:186]
	v_fma_f64 v[4:5], v[194:195], s[12:13], -v[196:197]
	v_fma_f64 v[6:7], v[200:201], s[12:13], v[202:203]
	v_add_f64 v[0:1], v[0:1], v[116:117]
	s_delay_alu instid0(VALU_DEP_4) | instskip(NEXT) | instid1(VALU_DEP_2)
	v_add_f64 v[2:3], v[2:3], v[118:119]
	v_add_f64 v[0:1], v[4:5], v[0:1]
	s_delay_alu instid0(VALU_DEP_2) | instskip(SKIP_2) | instid1(VALU_DEP_4)
	v_add_f64 v[2:3], v[6:7], v[2:3]
	v_fma_f64 v[4:5], v[218:219], s[0:1], -v[220:221]
	v_fma_f64 v[6:7], v[224:225], s[0:1], v[226:227]
	v_add_f64 v[0:1], v[8:9], v[0:1]
	s_delay_alu instid0(VALU_DEP_4) | instskip(NEXT) | instid1(VALU_DEP_2)
	v_add_f64 v[2:3], v[10:11], v[2:3]
	v_add_f64 v[116:117], v[4:5], v[0:1]
	s_delay_alu instid0(VALU_DEP_2) | instskip(SKIP_2) | instid1(VALU_DEP_2)
	v_add_f64 v[118:119], v[6:7], v[2:3]
	v_add_f64 v[0:1], v[112:113], v[84:85]
	;; [unrolled: 1-line block ×4, first 2 shown]
	s_delay_alu instid0(VALU_DEP_2) | instskip(NEXT) | instid1(VALU_DEP_2)
	v_add_f64 v[2:3], v[2:3], v[94:95]
	v_add_f64 v[0:1], v[0:1], v[96:97]
	s_delay_alu instid0(VALU_DEP_2) | instskip(NEXT) | instid1(VALU_DEP_2)
	v_add_f64 v[2:3], v[2:3], v[98:99]
	v_add_f64 v[0:1], v[0:1], v[100:101]
	s_delay_alu instid0(VALU_DEP_2) | instskip(NEXT) | instid1(VALU_DEP_2)
	v_add_f64 v[2:3], v[2:3], v[102:103]
	v_add_f64 v[0:1], v[0:1], v[104:105]
	s_delay_alu instid0(VALU_DEP_2) | instskip(NEXT) | instid1(VALU_DEP_2)
	v_add_f64 v[2:3], v[2:3], v[106:107]
	v_add_f64 v[0:1], v[0:1], v[108:109]
	s_delay_alu instid0(VALU_DEP_2) | instskip(NEXT) | instid1(VALU_DEP_2)
	v_add_f64 v[2:3], v[2:3], v[110:111]
	v_add_f64 v[0:1], v[0:1], v[90:91]
	s_delay_alu instid0(VALU_DEP_2) | instskip(NEXT) | instid1(VALU_DEP_2)
	v_add_f64 v[2:3], v[2:3], v[88:89]
	v_add_f64 v[0:1], v[0:1], v[82:83]
	s_delay_alu instid0(VALU_DEP_2) | instskip(NEXT) | instid1(VALU_DEP_2)
	v_add_f64 v[2:3], v[2:3], v[80:81]
	v_add_f64 v[78:79], v[0:1], v[78:79]
	s_delay_alu instid0(VALU_DEP_2) | instskip(SKIP_1) | instid1(VALU_DEP_1)
	v_add_f64 v[80:81], v[2:3], v[76:77]
	v_lshrrev_b32_e32 v0, 2, v14
	v_mul_u32_u24_e32 v0, 44, v0
	s_delay_alu instid0(VALU_DEP_1) | instskip(NEXT) | instid1(VALU_DEP_1)
	v_or_b32_e32 v0, v0, v120
	v_lshlrev_b32_e32 v192, 4, v0
	v_mad_u64_u32 v[0:1], null, 0xa0, v14, s[24:25]
	ds_store_b128 v192, v[125:128] offset:128
	ds_store_b128 v192, v[129:132] offset:192
	;; [unrolled: 1-line block ×10, first 2 shown]
	ds_store_b128 v192, v[78:81]
	s_waitcnt lgkmcnt(0)
	s_barrier
	buffer_gl0_inv
	s_clause 0x1
	global_load_b128 v[76:79], v[0:1], off offset:640
	global_load_b128 v[80:83], v[0:1], off offset:656
	ds_load_b128 v[84:87], v187 offset:704
	ds_load_b128 v[179:182], v187
	s_waitcnt vmcnt(1) lgkmcnt(1)
	v_mul_f64 v[2:3], v[86:87], v[78:79]
	v_mul_f64 v[4:5], v[84:85], v[78:79]
	s_delay_alu instid0(VALU_DEP_2) | instskip(NEXT) | instid1(VALU_DEP_2)
	v_fma_f64 v[2:3], v[84:85], v[76:77], -v[2:3]
	v_fma_f64 v[4:5], v[86:87], v[76:77], v[4:5]
	s_clause 0x1
	global_load_b128 v[88:91], v[0:1], off offset:784
	global_load_b128 v[84:87], v[0:1], off offset:768
	ds_load_b128 v[92:95], v187 offset:7040
	s_waitcnt vmcnt(1) lgkmcnt(0)
	v_mul_f64 v[6:7], v[92:93], v[90:91]
	s_delay_alu instid0(VALU_DEP_1) | instskip(SKIP_1) | instid1(VALU_DEP_2)
	v_fma_f64 v[124:125], v[94:95], v[88:89], v[6:7]
	v_mul_f64 v[6:7], v[94:95], v[90:91]
	v_add_f64 v[171:172], v[4:5], v[124:125]
	s_delay_alu instid0(VALU_DEP_2) | instskip(SKIP_4) | instid1(VALU_DEP_1)
	v_fma_f64 v[126:127], v[92:93], v[88:89], -v[6:7]
	ds_load_b128 v[92:95], v187 offset:1408
	ds_load_b128 v[100:103], v187 offset:2112
	s_waitcnt lgkmcnt(1)
	v_mul_f64 v[6:7], v[92:93], v[82:83]
	v_fma_f64 v[132:133], v[94:95], v[80:81], v[6:7]
	v_mul_f64 v[6:7], v[94:95], v[82:83]
	s_delay_alu instid0(VALU_DEP_1) | instskip(SKIP_4) | instid1(VALU_DEP_1)
	v_fma_f64 v[134:135], v[92:93], v[80:81], -v[6:7]
	ds_load_b128 v[92:95], v187 offset:6336
	ds_load_b128 v[116:119], v187 offset:5632
	s_waitcnt vmcnt(0) lgkmcnt(1)
	v_mul_f64 v[6:7], v[92:93], v[86:87]
	v_fma_f64 v[128:129], v[94:95], v[84:85], v[6:7]
	v_mul_f64 v[6:7], v[94:95], v[86:87]
	s_delay_alu instid0(VALU_DEP_2) | instskip(NEXT) | instid1(VALU_DEP_2)
	v_add_f64 v[215:216], v[132:133], v[128:129]
	v_fma_f64 v[130:131], v[92:93], v[84:85], -v[6:7]
	s_clause 0x1
	global_load_b128 v[96:99], v[0:1], off offset:672
	global_load_b128 v[92:95], v[0:1], off offset:688
	v_add_f64 v[213:214], v[134:135], -v[130:131]
	s_delay_alu instid0(VALU_DEP_1) | instskip(SKIP_3) | instid1(VALU_DEP_1)
	v_mul_f64 v[217:218], v[213:214], s[16:17]
	v_mul_f64 v[253:254], v[213:214], s[36:37]
	s_waitcnt vmcnt(1)
	v_mul_f64 v[6:7], v[102:103], v[98:99]
	v_fma_f64 v[136:137], v[100:101], v[96:97], -v[6:7]
	v_mul_f64 v[6:7], v[100:101], v[98:99]
	s_delay_alu instid0(VALU_DEP_1) | instskip(SKIP_4) | instid1(VALU_DEP_1)
	v_fma_f64 v[138:139], v[102:103], v[96:97], v[6:7]
	ds_load_b128 v[100:103], v187 offset:2816
	ds_load_b128 v[108:111], v187 offset:3520
	s_waitcnt vmcnt(0) lgkmcnt(1)
	v_mul_f64 v[6:7], v[102:103], v[94:95]
	v_fma_f64 v[140:141], v[100:101], v[92:93], -v[6:7]
	v_mul_f64 v[6:7], v[100:101], v[94:95]
	s_delay_alu instid0(VALU_DEP_1)
	v_fma_f64 v[142:143], v[102:103], v[92:93], v[6:7]
	s_clause 0x1
	global_load_b128 v[104:107], v[0:1], off offset:704
	global_load_b128 v[100:103], v[0:1], off offset:720
	s_waitcnt vmcnt(1) lgkmcnt(0)
	v_mul_f64 v[6:7], v[110:111], v[106:107]
	s_delay_alu instid0(VALU_DEP_1) | instskip(SKIP_1) | instid1(VALU_DEP_1)
	v_fma_f64 v[144:145], v[108:109], v[104:105], -v[6:7]
	v_mul_f64 v[6:7], v[108:109], v[106:107]
	v_fma_f64 v[146:147], v[110:111], v[104:105], v[6:7]
	ds_load_b128 v[108:111], v187 offset:4224
	ds_load_b128 v[120:123], v187 offset:4928
	s_waitcnt vmcnt(0) lgkmcnt(1)
	v_mul_f64 v[6:7], v[110:111], v[102:103]
	s_delay_alu instid0(VALU_DEP_1) | instskip(SKIP_1) | instid1(VALU_DEP_2)
	v_fma_f64 v[148:149], v[108:109], v[100:101], -v[6:7]
	v_mul_f64 v[6:7], v[108:109], v[102:103]
	v_add_f64 v[245:246], v[144:145], v[148:149]
	s_delay_alu instid0(VALU_DEP_2)
	v_fma_f64 v[150:151], v[110:111], v[100:101], v[6:7]
	s_clause 0x1
	global_load_b128 v[108:111], v[0:1], off offset:736
	global_load_b128 v[112:115], v[0:1], off offset:752
	v_add_f64 v[243:244], v[146:147], -v[150:151]
	v_add_f64 v[249:250], v[146:147], v[150:151]
	s_delay_alu instid0(VALU_DEP_2) | instskip(SKIP_2) | instid1(VALU_DEP_2)
	v_mul_f64 v[247:248], v[243:244], s[28:29]
	v_mul_f64 v[20:21], v[243:244], s[16:17]
	;; [unrolled: 1-line block ×3, first 2 shown]
	v_fma_f64 v[22:23], v[245:246], s[2:3], -v[20:21]
	s_delay_alu instid0(VALU_DEP_2) | instskip(SKIP_2) | instid1(VALU_DEP_1)
	v_fma_f64 v[42:43], v[245:246], s[10:11], -v[40:41]
	s_waitcnt vmcnt(1) lgkmcnt(0)
	v_mul_f64 v[0:1], v[122:123], v[110:111]
	v_fma_f64 v[152:153], v[120:121], v[108:109], -v[0:1]
	v_mul_f64 v[0:1], v[120:121], v[110:111]
	s_delay_alu instid0(VALU_DEP_2) | instskip(NEXT) | instid1(VALU_DEP_2)
	v_add_f64 v[233:234], v[140:141], v[152:153]
	v_fma_f64 v[154:155], v[122:123], v[108:109], v[0:1]
	s_waitcnt vmcnt(0)
	v_mul_f64 v[0:1], v[118:119], v[114:115]
	v_add_f64 v[237:238], v[140:141], -v[152:153]
	s_delay_alu instid0(VALU_DEP_3) | instskip(NEXT) | instid1(VALU_DEP_3)
	v_add_f64 v[231:232], v[142:143], -v[154:155]
	v_fma_f64 v[156:157], v[116:117], v[112:113], -v[0:1]
	v_mul_f64 v[0:1], v[116:117], v[114:115]
	v_add_f64 v[239:240], v[142:143], v[154:155]
	v_mul_f64 v[241:242], v[237:238], s[34:35]
	v_mul_f64 v[32:33], v[237:238], s[30:31]
	;; [unrolled: 1-line block ×3, first 2 shown]
	v_add_f64 v[221:222], v[136:137], v[156:157]
	v_fma_f64 v[158:159], v[118:119], v[112:113], v[0:1]
	v_add_f64 v[0:1], v[4:5], -v[124:125]
	v_add_f64 v[118:119], v[2:3], v[126:127]
	v_add_f64 v[225:226], v[136:137], -v[156:157]
	v_mul_f64 v[16:17], v[231:232], s[26:27]
	v_mul_f64 v[28:29], v[231:232], s[14:15]
	v_fma_f64 v[34:35], v[239:240], s[10:11], v[32:33]
	v_fma_f64 v[32:33], v[239:240], s[10:11], -v[32:33]
	v_add_f64 v[219:220], v[138:139], -v[158:159]
	v_mul_f64 v[116:117], v[0:1], s[16:17]
	v_mul_f64 v[6:7], v[0:1], s[26:27]
	;; [unrolled: 1-line block ×5, first 2 shown]
	v_add_f64 v[227:228], v[138:139], v[158:159]
	v_mul_f64 v[229:230], v[225:226], s[36:37]
	v_fma_f64 v[18:19], v[233:234], s[22:23], -v[16:17]
	v_fma_f64 v[30:31], v[233:234], s[0:1], -v[28:29]
	v_mul_f64 v[160:161], v[225:226], s[16:17]
	v_mul_f64 v[223:224], v[219:220], s[36:37]
	v_fma_f64 v[173:174], v[118:119], s[2:3], -v[116:117]
	v_fma_f64 v[183:184], v[118:119], s[2:3], v[116:117]
	v_add_f64 v[116:117], v[2:3], -v[126:127]
	v_fma_f64 v[120:121], v[118:119], s[22:23], -v[6:7]
	v_fma_f64 v[6:7], v[118:119], s[22:23], v[6:7]
	v_fma_f64 v[122:123], v[118:119], s[10:11], -v[8:9]
	v_fma_f64 v[8:9], v[118:119], s[10:11], v[8:9]
	;; [unrolled: 2-line block ×4, first 2 shown]
	v_mul_f64 v[12:13], v[219:220], s[30:31]
	v_mul_f64 v[24:25], v[219:220], s[26:27]
	;; [unrolled: 1-line block ×8, first 2 shown]
	v_add_f64 v[177:178], v[179:180], v[120:121]
	v_add_f64 v[188:189], v[179:180], v[188:189]
	v_fma_f64 v[14:15], v[221:222], s[10:11], -v[12:13]
	v_fma_f64 v[26:27], v[221:222], s[22:23], -v[24:25]
	v_fma_f64 v[175:176], v[171:172], s[22:23], v[118:119]
	v_fma_f64 v[118:119], v[171:172], s[22:23], -v[118:119]
	v_fma_f64 v[185:186], v[171:172], s[10:11], v[165:166]
	v_fma_f64 v[197:198], v[171:172], s[2:3], v[169:170]
	v_fma_f64 v[199:200], v[171:172], s[2:3], -v[169:170]
	v_add_f64 v[169:170], v[179:180], v[2:3]
	v_add_f64 v[2:3], v[179:180], v[6:7]
	v_fma_f64 v[190:191], v[171:172], s[10:11], -v[165:166]
	v_fma_f64 v[193:194], v[171:172], s[12:13], v[167:168]
	v_fma_f64 v[195:196], v[171:172], s[12:13], -v[167:168]
	v_fma_f64 v[201:202], v[171:172], s[0:1], v[116:117]
	v_fma_f64 v[203:204], v[171:172], s[0:1], -v[116:117]
	v_add_f64 v[171:172], v[181:182], v[4:5]
	v_add_f64 v[6:7], v[179:180], v[162:163]
	;; [unrolled: 1-line block ×3, first 2 shown]
	v_mul_f64 v[0:1], v[231:232], s[30:31]
	v_add_f64 v[175:176], v[181:182], v[175:176]
	v_add_f64 v[167:168], v[181:182], v[118:119]
	;; [unrolled: 1-line block ×6, first 2 shown]
	scratch_store_b64 off, v[2:3], off offset:196 ; 8-byte Folded Spill
	v_add_f64 v[2:3], v[179:180], v[122:123]
	v_add_f64 v[122:123], v[179:180], v[8:9]
	v_add_f64 v[179:180], v[132:133], -v[128:129]
	v_add_f64 v[164:165], v[181:182], v[190:191]
	v_add_f64 v[8:9], v[181:182], v[193:194]
	;; [unrolled: 1-line block ×8, first 2 shown]
	v_mul_f64 v[181:182], v[179:180], s[16:17]
	s_delay_alu instid0(VALU_DEP_1) | instskip(NEXT) | instid1(VALU_DEP_1)
	v_fma_f64 v[193:194], v[173:174], s[2:3], -v[181:182]
	v_add_f64 v[2:3], v[193:194], v[2:3]
	v_fma_f64 v[193:194], v[215:216], s[2:3], v[217:218]
	s_delay_alu instid0(VALU_DEP_1) | instskip(SKIP_1) | instid1(VALU_DEP_1)
	v_add_f64 v[4:5], v[193:194], v[4:5]
	v_fma_f64 v[193:194], v[221:222], s[0:1], -v[223:224]
	v_add_f64 v[2:3], v[193:194], v[2:3]
	v_fma_f64 v[193:194], v[227:228], s[0:1], v[229:230]
	s_delay_alu instid0(VALU_DEP_1) | instskip(SKIP_1) | instid1(VALU_DEP_1)
	v_add_f64 v[4:5], v[193:194], v[4:5]
	;; [unrolled: 5-line block ×3, first 2 shown]
	v_fma_f64 v[193:194], v[245:246], s[22:23], -v[247:248]
	v_add_f64 v[193:194], v[193:194], v[2:3]
	v_add_f64 v[2:3], v[144:145], -v[148:149]
	s_delay_alu instid0(VALU_DEP_1) | instskip(NEXT) | instid1(VALU_DEP_1)
	v_mul_f64 v[251:252], v[2:3], s[28:29]
	v_fma_f64 v[195:196], v[249:250], s[22:23], v[251:252]
	s_delay_alu instid0(VALU_DEP_1) | instskip(SKIP_1) | instid1(VALU_DEP_1)
	v_add_f64 v[195:196], v[195:196], v[4:5]
	v_mul_f64 v[4:5], v[179:180], s[36:37]
	v_fma_f64 v[197:198], v[173:174], s[0:1], -v[4:5]
	s_delay_alu instid0(VALU_DEP_1) | instskip(SKIP_1) | instid1(VALU_DEP_2)
	v_add_f64 v[6:7], v[197:198], v[6:7]
	v_fma_f64 v[197:198], v[215:216], s[0:1], v[253:254]
	v_add_f64 v[6:7], v[14:15], v[6:7]
	v_mul_f64 v[14:15], v[225:226], s[30:31]
	s_delay_alu instid0(VALU_DEP_3) | instskip(NEXT) | instid1(VALU_DEP_3)
	v_add_f64 v[8:9], v[197:198], v[8:9]
	v_add_f64 v[6:7], v[18:19], v[6:7]
	s_delay_alu instid0(VALU_DEP_3) | instskip(SKIP_1) | instid1(VALU_DEP_2)
	v_fma_f64 v[197:198], v[227:228], s[10:11], v[14:15]
	v_mul_f64 v[18:19], v[237:238], s[26:27]
	v_add_f64 v[8:9], v[197:198], v[8:9]
	s_delay_alu instid0(VALU_DEP_2) | instskip(NEXT) | instid1(VALU_DEP_1)
	v_fma_f64 v[197:198], v[239:240], s[22:23], v[18:19]
	v_add_f64 v[8:9], v[197:198], v[8:9]
	v_add_f64 v[197:198], v[22:23], v[6:7]
	v_mul_f64 v[6:7], v[2:3], s[16:17]
	s_delay_alu instid0(VALU_DEP_1) | instskip(SKIP_1) | instid1(VALU_DEP_2)
	v_fma_f64 v[22:23], v[249:250], s[2:3], v[6:7]
	v_fma_f64 v[6:7], v[249:250], s[2:3], -v[6:7]
	v_add_f64 v[199:200], v[22:23], v[8:9]
	v_mul_f64 v[8:9], v[179:180], s[34:35]
	s_delay_alu instid0(VALU_DEP_1) | instskip(NEXT) | instid1(VALU_DEP_1)
	v_fma_f64 v[22:23], v[173:174], s[12:13], -v[8:9]
	v_add_f64 v[10:11], v[22:23], v[10:11]
	v_mul_f64 v[22:23], v[213:214], s[34:35]
	s_delay_alu instid0(VALU_DEP_2) | instskip(NEXT) | instid1(VALU_DEP_2)
	v_add_f64 v[10:11], v[26:27], v[10:11]
	v_fma_f64 v[201:202], v[215:216], s[12:13], v[22:23]
	v_mul_f64 v[26:27], v[225:226], s[26:27]
	s_delay_alu instid0(VALU_DEP_3) | instskip(NEXT) | instid1(VALU_DEP_3)
	v_add_f64 v[10:11], v[30:31], v[10:11]
	v_add_f64 v[162:163], v[201:202], v[162:163]
	s_delay_alu instid0(VALU_DEP_3) | instskip(SKIP_1) | instid1(VALU_DEP_2)
	v_fma_f64 v[201:202], v[227:228], s[22:23], v[26:27]
	v_mul_f64 v[30:31], v[237:238], s[14:15]
	v_add_f64 v[162:163], v[201:202], v[162:163]
	s_delay_alu instid0(VALU_DEP_2) | instskip(NEXT) | instid1(VALU_DEP_1)
	v_fma_f64 v[201:202], v[239:240], s[0:1], v[30:31]
	v_add_f64 v[162:163], v[201:202], v[162:163]
	v_add_f64 v[201:202], v[42:43], v[10:11]
	v_mul_f64 v[10:11], v[2:3], s[30:31]
	s_delay_alu instid0(VALU_DEP_1) | instskip(SKIP_1) | instid1(VALU_DEP_2)
	v_fma_f64 v[42:43], v[249:250], s[10:11], v[10:11]
	v_fma_f64 v[10:11], v[249:250], s[10:11], -v[10:11]
	v_add_f64 v[203:204], v[42:43], v[162:163]
	v_mul_f64 v[42:43], v[179:180], s[28:29]
	s_delay_alu instid0(VALU_DEP_1) | instskip(NEXT) | instid1(VALU_DEP_1)
	v_fma_f64 v[162:163], v[173:174], s[22:23], -v[42:43]
	v_add_f64 v[162:163], v[162:163], v[188:189]
	v_mul_f64 v[188:189], v[213:214], s[28:29]
	s_delay_alu instid0(VALU_DEP_1) | instskip(NEXT) | instid1(VALU_DEP_1)
	v_fma_f64 v[205:206], v[215:216], s[22:23], v[188:189]
	v_add_f64 v[190:191], v[205:206], v[190:191]
	v_fma_f64 v[205:206], v[221:222], s[2:3], -v[211:212]
	s_delay_alu instid0(VALU_DEP_1) | instskip(SKIP_1) | instid1(VALU_DEP_1)
	v_add_f64 v[162:163], v[205:206], v[162:163]
	v_fma_f64 v[205:206], v[227:228], s[2:3], v[160:161]
	v_add_f64 v[190:191], v[205:206], v[190:191]
	v_fma_f64 v[205:206], v[233:234], s[10:11], -v[0:1]
	v_fma_f64 v[0:1], v[233:234], s[10:11], v[0:1]
	s_delay_alu instid0(VALU_DEP_3) | instskip(SKIP_1) | instid1(VALU_DEP_4)
	v_add_f64 v[34:35], v[34:35], v[190:191]
	v_mul_f64 v[190:191], v[243:244], s[18:19]
	v_add_f64 v[162:163], v[205:206], v[162:163]
	s_delay_alu instid0(VALU_DEP_2) | instskip(NEXT) | instid1(VALU_DEP_1)
	v_fma_f64 v[205:206], v[245:246], s[12:13], -v[190:191]
	v_add_f64 v[205:206], v[205:206], v[162:163]
	v_mul_f64 v[162:163], v[2:3], s[18:19]
	v_mul_f64 v[2:3], v[2:3], s[14:15]
	s_delay_alu instid0(VALU_DEP_2) | instskip(NEXT) | instid1(VALU_DEP_1)
	v_fma_f64 v[207:208], v[249:250], s[12:13], v[162:163]
	v_add_f64 v[207:208], v[207:208], v[34:35]
	v_fma_f64 v[34:35], v[173:174], s[22:23], v[42:43]
	v_fma_f64 v[42:43], v[215:216], s[22:23], -v[188:189]
	s_delay_alu instid0(VALU_DEP_2) | instskip(SKIP_1) | instid1(VALU_DEP_3)
	v_add_f64 v[34:35], v[34:35], v[116:117]
	v_fma_f64 v[116:117], v[221:222], s[2:3], v[211:212]
	v_add_f64 v[42:43], v[42:43], v[209:210]
	s_delay_alu instid0(VALU_DEP_2) | instskip(SKIP_1) | instid1(VALU_DEP_2)
	v_add_f64 v[34:35], v[116:117], v[34:35]
	v_fma_f64 v[116:117], v[227:228], s[2:3], -v[160:161]
	v_add_f64 v[0:1], v[0:1], v[34:35]
	v_fma_f64 v[34:35], v[245:246], s[12:13], v[190:191]
	s_delay_alu instid0(VALU_DEP_3) | instskip(NEXT) | instid1(VALU_DEP_2)
	v_add_f64 v[42:43], v[116:117], v[42:43]
	v_add_f64 v[209:210], v[34:35], v[0:1]
	v_fma_f64 v[0:1], v[173:174], s[12:13], v[8:9]
	v_fma_f64 v[8:9], v[215:216], s[12:13], -v[22:23]
	v_fma_f64 v[22:23], v[221:222], s[22:23], v[24:25]
	v_add_f64 v[32:33], v[32:33], v[42:43]
	v_fma_f64 v[42:43], v[249:250], s[12:13], -v[162:163]
	v_add_f64 v[0:1], v[0:1], v[185:186]
	v_add_f64 v[8:9], v[8:9], v[183:184]
	s_delay_alu instid0(VALU_DEP_3) | instskip(NEXT) | instid1(VALU_DEP_3)
	v_add_f64 v[211:212], v[42:43], v[32:33]
	v_add_f64 v[0:1], v[22:23], v[0:1]
	v_fma_f64 v[22:23], v[227:228], s[22:23], -v[26:27]
	s_delay_alu instid0(VALU_DEP_1) | instskip(SKIP_1) | instid1(VALU_DEP_1)
	v_add_f64 v[8:9], v[22:23], v[8:9]
	v_fma_f64 v[22:23], v[233:234], s[0:1], v[28:29]
	v_add_f64 v[0:1], v[22:23], v[0:1]
	v_fma_f64 v[22:23], v[239:240], s[0:1], -v[30:31]
	s_delay_alu instid0(VALU_DEP_1) | instskip(SKIP_1) | instid1(VALU_DEP_2)
	v_add_f64 v[8:9], v[22:23], v[8:9]
	v_fma_f64 v[22:23], v[245:246], s[10:11], v[40:41]
	v_add_f64 v[185:186], v[10:11], v[8:9]
	s_delay_alu instid0(VALU_DEP_2) | instskip(SKIP_4) | instid1(VALU_DEP_4)
	v_add_f64 v[183:184], v[22:23], v[0:1]
	v_fma_f64 v[0:1], v[173:174], s[0:1], v[4:5]
	v_fma_f64 v[4:5], v[215:216], s[0:1], -v[253:254]
	v_fma_f64 v[8:9], v[221:222], s[10:11], v[12:13]
	v_mul_f64 v[10:11], v[219:220], s[18:19]
	v_add_f64 v[0:1], v[0:1], v[118:119]
	s_delay_alu instid0(VALU_DEP_4) | instskip(NEXT) | instid1(VALU_DEP_3)
	v_add_f64 v[4:5], v[4:5], v[120:121]
	v_fma_f64 v[12:13], v[221:222], s[12:13], -v[10:11]
	s_delay_alu instid0(VALU_DEP_3) | instskip(SKIP_1) | instid1(VALU_DEP_1)
	v_add_f64 v[0:1], v[8:9], v[0:1]
	v_fma_f64 v[8:9], v[227:228], s[10:11], -v[14:15]
	v_add_f64 v[4:5], v[8:9], v[4:5]
	v_fma_f64 v[8:9], v[233:234], s[22:23], v[16:17]
	s_delay_alu instid0(VALU_DEP_1) | instskip(SKIP_1) | instid1(VALU_DEP_1)
	v_add_f64 v[0:1], v[8:9], v[0:1]
	v_fma_f64 v[8:9], v[239:240], s[22:23], -v[18:19]
	v_add_f64 v[4:5], v[8:9], v[4:5]
	v_fma_f64 v[8:9], v[245:246], s[2:3], v[20:21]
	s_delay_alu instid0(VALU_DEP_2) | instskip(NEXT) | instid1(VALU_DEP_2)
	v_add_f64 v[118:119], v[6:7], v[4:5]
	v_add_f64 v[116:117], v[8:9], v[0:1]
	v_fma_f64 v[0:1], v[173:174], s[2:3], v[181:182]
	v_fma_f64 v[4:5], v[215:216], s[2:3], -v[217:218]
	v_fma_f64 v[6:7], v[221:222], s[0:1], v[223:224]
	v_fma_f64 v[8:9], v[249:250], s[22:23], -v[251:252]
	s_delay_alu instid0(VALU_DEP_4) | instskip(NEXT) | instid1(VALU_DEP_4)
	v_add_f64 v[0:1], v[0:1], v[122:123]
	v_add_f64 v[4:5], v[4:5], v[164:165]
	s_delay_alu instid0(VALU_DEP_2) | instskip(SKIP_1) | instid1(VALU_DEP_1)
	v_add_f64 v[0:1], v[6:7], v[0:1]
	v_fma_f64 v[6:7], v[227:228], s[0:1], -v[229:230]
	v_add_f64 v[4:5], v[6:7], v[4:5]
	v_fma_f64 v[6:7], v[233:234], s[12:13], v[235:236]
	s_delay_alu instid0(VALU_DEP_1) | instskip(SKIP_1) | instid1(VALU_DEP_1)
	v_add_f64 v[0:1], v[6:7], v[0:1]
	v_fma_f64 v[6:7], v[239:240], s[12:13], -v[241:242]
	v_add_f64 v[4:5], v[6:7], v[4:5]
	v_fma_f64 v[6:7], v[245:246], s[22:23], v[247:248]
	s_delay_alu instid0(VALU_DEP_2) | instskip(NEXT) | instid1(VALU_DEP_2)
	v_add_f64 v[122:123], v[8:9], v[4:5]
	v_add_f64 v[120:121], v[6:7], v[0:1]
	v_mul_f64 v[0:1], v[179:180], s[20:21]
	v_mul_f64 v[6:7], v[213:214], s[20:21]
	s_delay_alu instid0(VALU_DEP_2) | instskip(NEXT) | instid1(VALU_DEP_2)
	v_fma_f64 v[4:5], v[173:174], s[10:11], -v[0:1]
	v_fma_f64 v[8:9], v[215:216], s[10:11], v[6:7]
	v_fma_f64 v[0:1], v[173:174], s[10:11], v[0:1]
	s_delay_alu instid0(VALU_DEP_3) | instskip(NEXT) | instid1(VALU_DEP_3)
	v_add_f64 v[4:5], v[4:5], v[177:178]
	v_add_f64 v[8:9], v[8:9], v[175:176]
	s_delay_alu instid0(VALU_DEP_2) | instskip(SKIP_1) | instid1(VALU_DEP_1)
	v_add_f64 v[4:5], v[12:13], v[4:5]
	v_mul_f64 v[12:13], v[225:226], s[18:19]
	v_fma_f64 v[14:15], v[227:228], s[12:13], v[12:13]
	s_delay_alu instid0(VALU_DEP_1) | instskip(SKIP_1) | instid1(VALU_DEP_1)
	v_add_f64 v[8:9], v[14:15], v[8:9]
	v_mul_f64 v[14:15], v[231:232], s[16:17]
	v_fma_f64 v[16:17], v[233:234], s[2:3], -v[14:15]
	s_delay_alu instid0(VALU_DEP_1) | instskip(SKIP_1) | instid1(VALU_DEP_1)
	v_add_f64 v[4:5], v[16:17], v[4:5]
	v_mul_f64 v[16:17], v[237:238], s[16:17]
	v_fma_f64 v[18:19], v[239:240], s[2:3], v[16:17]
	s_delay_alu instid0(VALU_DEP_1) | instskip(SKIP_1) | instid1(VALU_DEP_1)
	v_add_f64 v[8:9], v[18:19], v[8:9]
	v_mul_f64 v[18:19], v[243:244], s[14:15]
	v_fma_f64 v[20:21], v[245:246], s[0:1], -v[18:19]
	s_delay_alu instid0(VALU_DEP_1) | instskip(SKIP_2) | instid1(VALU_DEP_2)
	v_add_f64 v[175:176], v[20:21], v[4:5]
	v_fma_f64 v[4:5], v[249:250], s[0:1], v[2:3]
	v_fma_f64 v[2:3], v[249:250], s[0:1], -v[2:3]
	v_add_f64 v[177:178], v[4:5], v[8:9]
	v_add_f64 v[4:5], v[169:170], v[134:135]
	;; [unrolled: 1-line block ×3, first 2 shown]
	s_delay_alu instid0(VALU_DEP_2) | instskip(NEXT) | instid1(VALU_DEP_2)
	v_add_f64 v[4:5], v[4:5], v[136:137]
	v_add_f64 v[8:9], v[8:9], v[138:139]
	s_delay_alu instid0(VALU_DEP_2) | instskip(NEXT) | instid1(VALU_DEP_2)
	v_add_f64 v[4:5], v[4:5], v[140:141]
	v_add_f64 v[8:9], v[8:9], v[142:143]
	;; [unrolled: 3-line block ×7, first 2 shown]
	s_delay_alu instid0(VALU_DEP_2)
	v_add_f64 v[128:129], v[4:5], v[126:127]
	v_fma_f64 v[4:5], v[215:216], s[10:11], -v[6:7]
	v_fma_f64 v[6:7], v[221:222], s[12:13], v[10:11]
	scratch_load_b64 v[10:11], off, off offset:196 ; 8-byte Folded Reload
	v_add_f64 v[130:131], v[8:9], v[124:125]
	v_fma_f64 v[8:9], v[227:228], s[12:13], -v[12:13]
	v_fma_f64 v[12:13], v[239:240], s[2:3], -v[16:17]
	ds_store_b128 v187, v[193:196] offset:1408
	ds_store_b128 v187, v[197:200] offset:2112
	;; [unrolled: 1-line block ×7, first 2 shown]
	ds_store_b128 v187, v[128:131]
	scratch_load_b64 v[217:218], off, off offset:16 ; 8-byte Folded Reload
	v_add_f64 v[4:5], v[4:5], v[167:168]
	s_delay_alu instid0(VALU_DEP_1) | instskip(NEXT) | instid1(VALU_DEP_1)
	v_add_f64 v[4:5], v[8:9], v[4:5]
	v_add_f64 v[4:5], v[12:13], v[4:5]
	s_delay_alu instid0(VALU_DEP_1) | instskip(SKIP_3) | instid1(VALU_DEP_2)
	v_add_f64 v[126:127], v[2:3], v[4:5]
	s_waitcnt vmcnt(1)
	v_add_f64 v[0:1], v[0:1], v[10:11]
	v_fma_f64 v[10:11], v[233:234], s[2:3], v[14:15]
	v_add_f64 v[0:1], v[6:7], v[0:1]
	v_fma_f64 v[6:7], v[245:246], s[0:1], v[18:19]
	s_delay_alu instid0(VALU_DEP_2) | instskip(NEXT) | instid1(VALU_DEP_1)
	v_add_f64 v[0:1], v[10:11], v[0:1]
	v_add_f64 v[124:125], v[6:7], v[0:1]
	ds_store_b128 v187, v[116:119] offset:5632
	ds_store_b128 v187, v[120:123] offset:6336
	;; [unrolled: 1-line block ×3, first 2 shown]
	s_waitcnt vmcnt(0) lgkmcnt(0)
	s_waitcnt_vscnt null, 0x0
	s_barrier
	buffer_gl0_inv
	scratch_load_b64 v[219:220], off, off offset:32 ; 8-byte Folded Reload
	v_add_co_u32 v0, s0, 0x3000, v217
	s_delay_alu instid0(VALU_DEP_1)
	v_add_co_ci_u32_e64 v1, s0, 0, v218, s0
	s_waitcnt vmcnt(0)
	global_load_b128 v[128:131], v[219:220], off offset:3648
	ds_load_b128 v[132:135], v187
	ds_load_b128 v[136:139], v187 offset:704
	global_load_b128 v[140:143], v[0:1], off offset:1968
	ds_load_b128 v[148:151], v187 offset:1936
	ds_load_b128 v[156:159], v187 offset:2640
	ds_load_b128 v[169:172], v187 offset:3872
	ds_load_b128 v[177:180], v187 offset:4576
	s_waitcnt vmcnt(1) lgkmcnt(5)
	v_mul_f64 v[2:3], v[134:135], v[130:131]
	v_mul_f64 v[4:5], v[132:133], v[130:131]
	s_delay_alu instid0(VALU_DEP_2) | instskip(NEXT) | instid1(VALU_DEP_2)
	v_fma_f64 v[130:131], v[132:133], v[128:129], -v[2:3]
	v_fma_f64 v[132:133], v[134:135], v[128:129], v[4:5]
	v_add_co_u32 v128, s0, 0x1e40, v217
	s_delay_alu instid0(VALU_DEP_1)
	v_add_co_ci_u32_e64 v129, s0, 0, v218, s0
	s_clause 0x5
	global_load_b128 v[144:147], v[128:129], off offset:1936
	global_load_b128 v[173:176], v[128:129], off offset:2640
	;; [unrolled: 1-line block ×6, first 2 shown]
	ds_load_b128 v[197:200], v187 offset:5808
	ds_load_b128 v[201:204], v187 offset:6512
	s_waitcnt vmcnt(5) lgkmcnt(5)
	v_mul_f64 v[2:3], v[150:151], v[146:147]
	v_mul_f64 v[4:5], v[148:149], v[146:147]
	s_waitcnt vmcnt(1) lgkmcnt(1)
	v_mul_f64 v[0:1], v[199:200], v[183:184]
	s_delay_alu instid0(VALU_DEP_3) | instskip(SKIP_1) | instid1(VALU_DEP_4)
	v_fma_f64 v[146:147], v[148:149], v[144:145], -v[2:3]
	v_mul_f64 v[2:3], v[171:172], v[167:168]
	v_fma_f64 v[148:149], v[150:151], v[144:145], v[4:5]
	v_mul_f64 v[4:5], v[169:170], v[167:168]
	s_delay_alu instid0(VALU_DEP_3) | instskip(SKIP_4) | instid1(VALU_DEP_4)
	v_fma_f64 v[167:168], v[169:170], v[165:166], -v[2:3]
	v_mul_f64 v[2:3], v[197:198], v[183:184]
	v_fma_f64 v[183:184], v[197:198], v[181:182], -v[0:1]
	v_mul_f64 v[0:1], v[138:139], v[154:155]
	v_fma_f64 v[169:170], v[171:172], v[165:166], v[4:5]
	v_fma_f64 v[185:186], v[199:200], v[181:182], v[2:3]
	v_mul_f64 v[2:3], v[136:137], v[154:155]
	s_delay_alu instid0(VALU_DEP_4) | instskip(SKIP_1) | instid1(VALU_DEP_3)
	v_fma_f64 v[134:135], v[136:137], v[152:153], -v[0:1]
	v_mul_f64 v[0:1], v[158:159], v[175:176]
	v_fma_f64 v[136:137], v[138:139], v[152:153], v[2:3]
	v_mul_f64 v[2:3], v[156:157], v[175:176]
	s_delay_alu instid0(VALU_DEP_3) | instskip(SKIP_2) | instid1(VALU_DEP_3)
	v_fma_f64 v[150:151], v[156:157], v[173:174], -v[0:1]
	s_waitcnt vmcnt(0)
	v_mul_f64 v[0:1], v[179:180], v[195:196]
	v_fma_f64 v[152:153], v[158:159], v[173:174], v[2:3]
	v_mul_f64 v[2:3], v[177:178], v[195:196]
	s_delay_alu instid0(VALU_DEP_3) | instskip(SKIP_2) | instid1(VALU_DEP_3)
	v_fma_f64 v[154:155], v[177:178], v[193:194], -v[0:1]
	s_waitcnt lgkmcnt(0)
	v_mul_f64 v[0:1], v[203:204], v[142:143]
	v_fma_f64 v[156:157], v[179:180], v[193:194], v[2:3]
	v_mul_f64 v[2:3], v[201:202], v[142:143]
	s_delay_alu instid0(VALU_DEP_3) | instskip(NEXT) | instid1(VALU_DEP_2)
	v_fma_f64 v[138:139], v[201:202], v[140:141], -v[0:1]
	v_fma_f64 v[140:141], v[203:204], v[140:141], v[2:3]
	ds_store_b128 v187, v[130:133]
	ds_store_b128 v187, v[134:137] offset:704
	ds_store_b128 v187, v[146:149] offset:1936
	;; [unrolled: 1-line block ×7, first 2 shown]
	s_and_saveexec_b32 s1, vcc_lo
	s_cbranch_execz .LBB0_9
; %bb.8:
	v_add_co_u32 v0, s0, 0x1000, v128
	s_delay_alu instid0(VALU_DEP_1)
	v_add_co_ci_u32_e64 v1, s0, 0, v129, s0
	s_clause 0x3
	global_load_b128 v[130:133], v[128:129], off offset:1408
	global_load_b128 v[134:137], v[128:129], off offset:3344
	;; [unrolled: 1-line block ×4, first 2 shown]
	ds_load_b128 v[146:149], v187 offset:1408
	ds_load_b128 v[150:153], v187 offset:3344
	;; [unrolled: 1-line block ×4, first 2 shown]
	s_waitcnt vmcnt(3) lgkmcnt(3)
	v_mul_f64 v[0:1], v[148:149], v[132:133]
	v_mul_f64 v[2:3], v[146:147], v[132:133]
	s_waitcnt vmcnt(2) lgkmcnt(2)
	v_mul_f64 v[4:5], v[152:153], v[136:137]
	v_mul_f64 v[6:7], v[150:151], v[136:137]
	;; [unrolled: 3-line block ×4, first 2 shown]
	v_fma_f64 v[128:129], v[146:147], v[130:131], -v[0:1]
	v_fma_f64 v[130:131], v[148:149], v[130:131], v[2:3]
	v_fma_f64 v[132:133], v[150:151], v[134:135], -v[4:5]
	v_fma_f64 v[134:135], v[152:153], v[134:135], v[6:7]
	v_fma_f64 v[136:137], v[154:155], v[138:139], -v[8:9]
	v_fma_f64 v[138:139], v[156:157], v[138:139], v[10:11]
	v_fma_f64 v[140:141], v[165:166], v[142:143], -v[12:13]
	v_fma_f64 v[142:143], v[167:168], v[142:143], v[14:15]
	ds_store_b128 v187, v[128:131] offset:1408
	ds_store_b128 v187, v[132:135] offset:3344
	;; [unrolled: 1-line block ×4, first 2 shown]
.LBB0_9:
	s_or_b32 exec_lo, exec_lo, s1
	s_waitcnt lgkmcnt(0)
	s_barrier
	buffer_gl0_inv
	ds_load_b128 v[128:131], v187
	ds_load_b128 v[132:135], v187 offset:704
	ds_load_b128 v[140:143], v187 offset:1936
	ds_load_b128 v[136:139], v187 offset:2640
	ds_load_b128 v[156:159], v187 offset:3872
	ds_load_b128 v[148:151], v187 offset:4576
	ds_load_b128 v[152:155], v187 offset:5808
	ds_load_b128 v[144:147], v187 offset:6512
	scratch_load_b32 v0, off, off offset:192 ; 4-byte Folded Reload
	s_waitcnt vmcnt(0)
	v_add_nc_u32_e32 v165, 0xb00, v0
	s_and_saveexec_b32 s0, vcc_lo
	s_cbranch_execz .LBB0_11
; %bb.10:
	ds_load_b128 v[116:119], v187 offset:1408
	ds_load_b128 v[120:123], v187 offset:3344
	;; [unrolled: 1-line block ×4, first 2 shown]
	s_waitcnt lgkmcnt(0)
	scratch_store_b128 off, v[0:3], off     ; 16-byte Folded Spill
.LBB0_11:
	s_or_b32 exec_lo, exec_lo, s0
	s_waitcnt lgkmcnt(3)
	v_add_f64 v[0:1], v[128:129], -v[156:157]
	s_waitcnt lgkmcnt(1)
	v_add_f64 v[6:7], v[142:143], -v[154:155]
	s_waitcnt lgkmcnt(0)
	v_add_f64 v[12:13], v[136:137], -v[144:145]
	s_waitcnt_vscnt null, 0x0
	s_barrier
	buffer_gl0_inv
	v_add_f64 v[2:3], v[130:131], -v[158:159]
	v_add_f64 v[4:5], v[140:141], -v[152:153]
	;; [unrolled: 1-line block ×5, first 2 shown]
	v_fma_f64 v[16:17], v[128:129], 2.0, -v[0:1]
	v_add_f64 v[128:129], v[0:1], v[6:7]
	v_fma_f64 v[22:23], v[142:143], 2.0, -v[6:7]
	v_fma_f64 v[28:29], v[136:137], 2.0, -v[12:13]
	;; [unrolled: 1-line block ×7, first 2 shown]
	v_add_f64 v[130:131], v[2:3], -v[4:5]
	v_add_f64 v[132:133], v[8:9], v[14:15]
	v_add_f64 v[134:135], v[10:11], -v[12:13]
	v_fma_f64 v[144:145], v[0:1], 2.0, -v[128:129]
	scratch_load_b32 v0, off, off offset:188 ; 4-byte Folded Reload
	v_add_f64 v[138:139], v[18:19], -v[22:23]
	v_add_f64 v[136:137], v[16:17], -v[20:21]
	;; [unrolled: 1-line block ×4, first 2 shown]
	v_fma_f64 v[146:147], v[2:3], 2.0, -v[130:131]
	v_fma_f64 v[148:149], v[8:9], 2.0, -v[132:133]
	;; [unrolled: 1-line block ×7, first 2 shown]
	s_waitcnt vmcnt(0)
	ds_store_b128 v0, v[136:139] offset:32
	ds_store_b128 v0, v[128:131] offset:48
	ds_store_b128 v0, v[152:155]
	ds_store_b128 v0, v[144:147] offset:16
	ds_store_b128 v165, v[156:159]
	ds_store_b128 v165, v[148:151] offset:16
	ds_store_b128 v165, v[140:143] offset:32
	;; [unrolled: 1-line block ×3, first 2 shown]
	s_and_saveexec_b32 s0, vcc_lo
	s_cbranch_execz .LBB0_13
; %bb.12:
	scratch_load_b128 v[6:9], off, off      ; 16-byte Folded Reload
	v_add_f64 v[0:1], v[118:119], -v[126:127]
	v_add_f64 v[4:5], v[116:117], -v[124:125]
	s_delay_alu instid0(VALU_DEP_1) | instskip(SKIP_4) | instid1(VALU_DEP_3)
	v_fma_f64 v[12:13], v[116:117], 2.0, -v[4:5]
	s_waitcnt vmcnt(0)
	v_add_f64 v[6:7], v[120:121], -v[6:7]
	v_add_f64 v[2:3], v[122:123], -v[8:9]
	v_fma_f64 v[8:9], v[118:119], 2.0, -v[0:1]
	v_add_f64 v[42:43], v[0:1], -v[6:7]
	s_delay_alu instid0(VALU_DEP_3) | instskip(SKIP_2) | instid1(VALU_DEP_4)
	v_fma_f64 v[10:11], v[122:123], 2.0, -v[2:3]
	v_fma_f64 v[14:15], v[120:121], 2.0, -v[6:7]
	v_add_f64 v[40:41], v[4:5], v[2:3]
	v_fma_f64 v[122:123], v[0:1], 2.0, -v[42:43]
	scratch_load_b32 v0, off, off offset:184 ; 4-byte Folded Reload
	v_add_f64 v[118:119], v[8:9], -v[10:11]
	v_add_f64 v[116:117], v[12:13], -v[14:15]
	v_fma_f64 v[120:121], v[4:5], 2.0, -v[40:41]
	s_delay_alu instid0(VALU_DEP_3) | instskip(NEXT) | instid1(VALU_DEP_3)
	v_fma_f64 v[126:127], v[8:9], 2.0, -v[118:119]
	v_fma_f64 v[124:125], v[12:13], 2.0, -v[116:117]
	s_waitcnt vmcnt(0)
	ds_store_b128 v0, v[124:127]
	ds_store_b128 v0, v[120:123] offset:16
	ds_store_b128 v0, v[116:119] offset:32
	ds_store_b128 v0, v[40:43] offset:48
.LBB0_13:
	s_or_b32 exec_lo, exec_lo, s0
	s_waitcnt lgkmcnt(0)
	s_barrier
	buffer_gl0_inv
	ds_load_b128 v[40:43], v187 offset:704
	ds_load_b128 v[116:119], v187
	ds_load_b128 v[120:123], v187 offset:7040
	ds_load_b128 v[124:127], v187 offset:1408
	;; [unrolled: 1-line block ×4, first 2 shown]
	scratch_load_b128 v[32:35], off, off offset:168 ; 16-byte Folded Reload
	ds_load_b128 v[136:139], v187 offset:5632
	ds_load_b128 v[140:143], v187 offset:4928
	;; [unrolled: 1-line block ×5, first 2 shown]
	s_mov_b32 s0, 0xf8bb580b
	s_mov_b32 s2, 0x8764f0ba
	;; [unrolled: 1-line block ×12, first 2 shown]
	s_waitcnt lgkmcnt(10)
	v_mul_f64 v[0:1], v[38:39], v[42:43]
	v_mul_f64 v[2:3], v[38:39], v[40:41]
	s_waitcnt lgkmcnt(7)
	v_mul_f64 v[6:7], v[46:47], v[126:127]
	v_mul_f64 v[8:9], v[46:47], v[124:125]
	s_waitcnt lgkmcnt(6)
	v_mul_f64 v[10:11], v[50:51], v[128:129]
	s_waitcnt lgkmcnt(5)
	;; [unrolled: 2-line block ×3, first 2 shown]
	v_mul_f64 v[14:15], v[66:67], v[136:137]
	v_mul_f64 v[18:19], v[58:59], v[134:135]
	;; [unrolled: 1-line block ×4, first 2 shown]
	s_waitcnt lgkmcnt(1)
	v_mul_f64 v[46:47], v[74:75], v[150:151]
	v_mul_f64 v[22:23], v[54:55], v[146:147]
	;; [unrolled: 1-line block ×6, first 2 shown]
	s_waitcnt lgkmcnt(0)
	v_mul_f64 v[54:55], v[70:71], v[154:155]
	v_mul_f64 v[58:59], v[70:71], v[152:153]
	s_mov_b32 s25, 0xbfe82f19
	s_mov_b32 s27, 0xbfe4f49e
	;; [unrolled: 1-line block ×15, first 2 shown]
	s_waitcnt vmcnt(0)
	s_barrier
	buffer_gl0_inv
	v_fma_f64 v[0:1], v[36:37], v[40:41], v[0:1]
	v_fma_f64 v[2:3], v[36:37], v[42:43], -v[2:3]
	v_fma_f64 v[8:9], v[44:45], v[126:127], -v[8:9]
	;; [unrolled: 1-line block ×5, first 2 shown]
	v_fma_f64 v[14:15], v[56:57], v[132:133], v[18:19]
	v_fma_f64 v[38:39], v[48:49], v[128:129], v[20:21]
	;; [unrolled: 1-line block ×4, first 2 shown]
	v_fma_f64 v[18:19], v[52:53], v[146:147], -v[26:27]
	v_fma_f64 v[20:21], v[60:61], v[140:141], v[28:29]
	v_fma_f64 v[26:27], v[72:73], v[150:151], -v[50:51]
	v_fma_f64 v[28:29], v[68:69], v[152:153], v[54:55]
	v_add_f64 v[10:11], v[118:119], v[2:3]
	v_add_f64 v[46:47], v[8:9], -v[36:37]
	v_add_f64 v[48:49], v[8:9], v[36:37]
	v_add_f64 v[50:51], v[12:13], v[40:41]
	;; [unrolled: 1-line block ×3, first 2 shown]
	v_add_f64 v[72:73], v[24:25], -v[28:29]
	v_add_f64 v[8:9], v[10:11], v[8:9]
	v_add_f64 v[10:11], v[12:13], -v[40:41]
	v_mul_f64 v[140:141], v[46:47], s[36:37]
	v_mul_f64 v[136:137], v[48:49], s[14:15]
	;; [unrolled: 1-line block ×7, first 2 shown]
	v_add_f64 v[8:9], v[8:9], v[12:13]
	v_mul_f64 v[12:13], v[46:47], s[24:25]
	v_mul_f64 v[148:149], v[10:11], s[18:19]
	;; [unrolled: 1-line block ×6, first 2 shown]
	v_add_f64 v[8:9], v[8:9], v[18:19]
	v_fma_f64 v[211:212], v[56:57], s[34:35], v[152:153]
	v_fma_f64 v[152:153], v[56:57], s[34:35], -v[152:153]
	v_fma_f64 v[215:216], v[56:57], s[2:3], v[160:161]
	s_delay_alu instid0(VALU_DEP_4) | instskip(SKIP_2) | instid1(VALU_DEP_2)
	v_add_f64 v[8:9], v[8:9], v[26:27]
	v_mul_f64 v[4:5], v[34:35], v[120:121]
	v_mul_f64 v[16:17], v[34:35], v[122:123]
	v_fma_f64 v[34:35], v[32:33], v[122:123], -v[4:5]
	v_fma_f64 v[4:5], v[44:45], v[124:125], v[6:7]
	v_add_f64 v[6:7], v[116:117], v[0:1]
	s_delay_alu instid0(VALU_DEP_4)
	v_fma_f64 v[32:33], v[32:33], v[120:121], v[16:17]
	v_fma_f64 v[16:17], v[52:53], v[144:145], v[22:23]
	v_fma_f64 v[22:23], v[60:61], v[142:143], -v[30:31]
	v_fma_f64 v[30:31], v[68:69], v[154:155], -v[58:59]
	v_add_f64 v[58:59], v[14:15], -v[42:43]
	v_mul_f64 v[142:143], v[48:49], s[34:35]
	v_mul_f64 v[144:145], v[46:47], s[22:23]
	;; [unrolled: 1-line block ×5, first 2 shown]
	v_add_f64 v[68:69], v[24:25], v[28:29]
	v_add_f64 v[44:45], v[2:3], -v[34:35]
	v_add_f64 v[2:3], v[2:3], v[34:35]
	v_add_f64 v[6:7], v[6:7], v[4:5]
	;; [unrolled: 1-line block ×3, first 2 shown]
	v_add_f64 v[0:1], v[0:1], -v[32:33]
	v_add_f64 v[54:55], v[4:5], v[38:39]
	v_add_f64 v[4:5], v[4:5], -v[38:39]
	v_add_f64 v[60:61], v[16:17], v[20:21]
	;; [unrolled: 2-line block ×4, first 2 shown]
	v_add_f64 v[70:71], v[26:27], v[30:31]
	v_add_f64 v[74:75], v[26:27], -v[30:31]
	v_fma_f64 v[26:27], v[56:57], s[14:15], v[156:157]
	v_fma_f64 v[213:214], v[58:59], s[12:13], v[158:159]
	v_fma_f64 v[156:157], v[56:57], s[14:15], -v[156:157]
	v_fma_f64 v[158:159], v[58:59], s[16:17], v[158:159]
	v_mul_f64 v[120:121], v[44:45], s[0:1]
	v_mul_f64 v[122:123], v[2:3], s[2:3]
	v_add_f64 v[6:7], v[6:7], v[14:15]
	v_mul_f64 v[124:125], v[44:45], s[12:13]
	v_mul_f64 v[126:127], v[2:3], s[14:15]
	;; [unrolled: 1-line block ×10, first 2 shown]
	v_fma_f64 v[195:196], v[54:55], s[26:27], v[12:13]
	v_fma_f64 v[197:198], v[4:5], s[28:29], v[138:139]
	;; [unrolled: 1-line block ×6, first 2 shown]
	v_fma_f64 v[144:145], v[54:55], s[20:21], -v[144:145]
	v_fma_f64 v[209:210], v[4:5], s[0:1], v[48:49]
	v_fma_f64 v[138:139], v[4:5], s[24:25], v[138:139]
	;; [unrolled: 1-line block ×4, first 2 shown]
	v_fma_f64 v[140:141], v[54:55], s[34:35], -v[140:141]
	v_fma_f64 v[12:13], v[54:55], s[26:27], -v[12:13]
	v_mul_f64 v[166:167], v[62:63], s[26:27]
	v_mul_f64 v[168:169], v[64:65], s[22:23]
	;; [unrolled: 1-line block ×6, first 2 shown]
	v_add_f64 v[8:9], v[8:9], v[22:23]
	v_mul_f64 v[30:31], v[74:75], s[30:31]
	v_fma_f64 v[176:177], v[52:53], s[2:3], v[120:121]
	v_fma_f64 v[178:179], v[0:1], s[10:11], v[122:123]
	v_add_f64 v[6:7], v[6:7], v[16:17]
	v_fma_f64 v[122:123], v[0:1], s[0:1], v[122:123]
	v_fma_f64 v[180:181], v[52:53], s[14:15], v[124:125]
	v_fma_f64 v[182:183], v[0:1], s[16:17], v[126:127]
	v_fma_f64 v[184:185], v[52:53], s[20:21], v[128:129]
	v_fma_f64 v[16:17], v[0:1], s[22:23], v[130:131]
	v_fma_f64 v[18:19], v[52:53], s[26:27], v[132:133]
	v_fma_f64 v[188:189], v[0:1], s[28:29], v[134:135]
	v_fma_f64 v[132:133], v[52:53], s[26:27], -v[132:133]
	v_fma_f64 v[190:191], v[52:53], s[34:35], v[44:45]
	v_fma_f64 v[193:194], v[0:1], s[36:37], v[2:3]
	;; [unrolled: 1-line block ×5, first 2 shown]
	v_fma_f64 v[44:45], v[52:53], s[34:35], -v[44:45]
	v_fma_f64 v[0:1], v[0:1], s[30:31], v[2:3]
	v_fma_f64 v[128:129], v[52:53], s[20:21], -v[128:129]
	v_fma_f64 v[124:125], v[52:53], s[14:15], -v[124:125]
	;; [unrolled: 1-line block ×3, first 2 shown]
	v_fma_f64 v[2:3], v[54:55], s[14:15], v[14:15]
	v_fma_f64 v[52:53], v[4:5], s[16:17], v[136:137]
	;; [unrolled: 1-line block ×4, first 2 shown]
	v_fma_f64 v[46:47], v[54:55], s[2:3], -v[46:47]
	v_fma_f64 v[4:5], v[4:5], s[10:11], v[48:49]
	v_fma_f64 v[14:15], v[54:55], s[14:15], -v[14:15]
	v_fma_f64 v[48:49], v[56:57], s[20:21], v[148:149]
	v_fma_f64 v[54:55], v[58:59], s[22:23], v[150:151]
	;; [unrolled: 1-line block ×3, first 2 shown]
	v_fma_f64 v[148:149], v[56:57], s[20:21], -v[148:149]
	v_fma_f64 v[22:23], v[60:61], s[2:3], v[172:173]
	v_add_f64 v[8:9], v[8:9], v[40:41]
	v_add_f64 v[176:177], v[116:117], v[176:177]
	;; [unrolled: 1-line block ×22, first 2 shown]
	v_fma_f64 v[24:25], v[58:59], s[30:31], v[154:155]
	v_fma_f64 v[154:155], v[58:59], s[36:37], v[154:155]
	;; [unrolled: 1-line block ×3, first 2 shown]
	v_fma_f64 v[118:119], v[56:57], s[2:3], -v[160:161]
	v_fma_f64 v[160:161], v[58:59], s[0:1], v[162:163]
	v_fma_f64 v[162:163], v[56:57], s[26:27], v[10:11]
	v_fma_f64 v[10:11], v[56:57], s[26:27], -v[10:11]
	v_fma_f64 v[56:57], v[58:59], s[28:29], v[50:51]
	v_fma_f64 v[50:51], v[58:59], s[24:25], v[50:51]
	v_mul_f64 v[58:59], v[64:65], s[30:31]
	v_mul_f64 v[64:65], v[64:65], s[16:17]
	v_add_f64 v[8:9], v[8:9], v[36:37]
	v_add_f64 v[2:3], v[2:3], v[176:177]
	v_mul_f64 v[176:177], v[70:71], s[34:35]
	v_add_f64 v[6:7], v[6:7], v[28:29]
	v_add_f64 v[122:123], v[136:137], v[122:123]
	;; [unrolled: 1-line block ×6, first 2 shown]
	v_mul_f64 v[28:29], v[62:63], s[34:35]
	v_add_f64 v[18:19], v[203:204], v[18:19]
	v_add_f64 v[188:189], v[205:206], v[188:189]
	v_mul_f64 v[62:63], v[62:63], s[14:15]
	v_add_f64 v[132:133], v[144:145], v[132:133]
	v_add_f64 v[144:145], v[207:208], v[190:191]
	;; [unrolled: 1-line block ×11, first 2 shown]
	v_mul_f64 v[120:121], v[74:75], s[10:11]
	v_mul_f64 v[136:137], v[70:71], s[2:3]
	v_fma_f64 v[140:141], v[66:67], s[28:29], v[166:167]
	v_fma_f64 v[166:167], v[66:67], s[24:25], v[166:167]
	;; [unrolled: 1-line block ×4, first 2 shown]
	v_mul_f64 v[195:196], v[74:75], s[24:25]
	v_mul_f64 v[197:198], v[70:71], s[26:27]
	;; [unrolled: 1-line block ×5, first 2 shown]
	v_fma_f64 v[138:139], v[60:61], s[34:35], v[58:59]
	v_mul_f64 v[70:71], v[70:71], s[20:21]
	v_fma_f64 v[130:131], v[60:61], s[2:3], -v[172:173]
	v_fma_f64 v[146:147], v[60:61], s[14:15], v[64:65]
	v_add_f64 v[2:3], v[48:49], v[2:3]
	v_fma_f64 v[201:202], v[60:61], s[26:27], v[164:165]
	v_add_f64 v[6:7], v[6:7], v[20:21]
	v_add_f64 v[20:21], v[52:53], v[178:179]
	;; [unrolled: 1-line block ×5, first 2 shown]
	v_fma_f64 v[52:53], v[66:67], s[10:11], v[174:175]
	v_add_f64 v[26:27], v[26:27], v[184:185]
	v_add_f64 v[16:17], v[213:214], v[16:17]
	v_fma_f64 v[142:143], v[66:67], s[36:37], v[28:29]
	v_add_f64 v[18:19], v[215:216], v[18:19]
	v_add_f64 v[116:117], v[116:117], v[188:189]
	;; [unrolled: 3-line block ×3, first 2 shown]
	v_add_f64 v[56:57], v[56:57], v[190:191]
	v_fma_f64 v[164:165], v[60:61], s[26:27], -v[164:165]
	v_fma_f64 v[168:169], v[60:61], s[20:21], -v[168:169]
	;; [unrolled: 1-line block ×4, first 2 shown]
	v_fma_f64 v[62:63], v[66:67], s[16:17], v[62:63]
	v_add_f64 v[10:11], v[10:11], v[44:45]
	v_add_f64 v[0:1], v[50:51], v[0:1]
	v_fma_f64 v[28:29], v[66:67], s[30:31], v[28:29]
	v_add_f64 v[4:5], v[160:161], v[4:5]
	v_fma_f64 v[134:135], v[66:67], s[0:1], v[174:175]
	v_add_f64 v[128:129], v[156:157], v[128:129]
	v_add_f64 v[44:45], v[158:159], v[46:47]
	v_fma_f64 v[170:171], v[66:67], s[22:23], v[170:171]
	v_add_f64 v[12:13], v[152:153], v[12:13]
	v_add_f64 v[46:47], v[154:155], v[126:127]
	;; [unrolled: 1-line block ×3, first 2 shown]
	v_fma_f64 v[50:51], v[68:69], s[2:3], v[120:121]
	v_fma_f64 v[126:127], v[72:73], s[10:11], v[136:137]
	;; [unrolled: 1-line block ×4, first 2 shown]
	v_fma_f64 v[30:31], v[68:69], s[34:35], -v[30:31]
	v_fma_f64 v[120:121], v[68:69], s[2:3], -v[120:121]
	;; [unrolled: 1-line block ×3, first 2 shown]
	v_add_f64 v[6:7], v[6:7], v[42:43]
	v_add_f64 v[20:21], v[54:55], v[20:21]
	v_fma_f64 v[54:55], v[72:73], s[0:1], v[136:137]
	v_add_f64 v[42:43], v[166:167], v[48:49]
	v_add_f64 v[48:49], v[203:204], v[122:123]
	;; [unrolled: 1-line block ×3, first 2 shown]
	v_fma_f64 v[136:137], v[68:69], s[26:27], v[195:196]
	v_add_f64 v[22:23], v[22:23], v[26:27]
	v_add_f64 v[16:17], v[52:53], v[16:17]
	v_fma_f64 v[152:153], v[68:69], s[14:15], v[124:125]
	v_fma_f64 v[154:155], v[72:73], s[12:13], v[199:200]
	v_fma_f64 v[124:125], v[68:69], s[14:15], -v[124:125]
	v_fma_f64 v[158:159], v[68:69], s[20:21], v[74:75]
	v_fma_f64 v[74:75], v[68:69], s[20:21], -v[74:75]
	v_add_f64 v[18:19], v[138:139], v[18:19]
	v_add_f64 v[68:69], v[142:143], v[116:117]
	v_fma_f64 v[174:175], v[72:73], s[36:37], v[176:177]
	v_fma_f64 v[66:67], v[72:73], s[30:31], v[176:177]
	;; [unrolled: 1-line block ×6, first 2 shown]
	v_add_f64 v[70:71], v[146:147], v[132:133]
	v_add_f64 v[72:73], v[172:173], v[56:57]
	;; [unrolled: 1-line block ×36, first 2 shown]
	ds_store_b128 v192, v[44:47] offset:128
	ds_store_b128 v192, v[52:55] offset:192
	;; [unrolled: 1-line block ×9, first 2 shown]
	ds_store_b128 v192, v[32:35]
	ds_store_b128 v192, v[36:39] offset:64
	s_waitcnt lgkmcnt(0)
	s_barrier
	buffer_gl0_inv
	ds_load_b128 v[32:35], v187 offset:704
	ds_load_b128 v[44:47], v187
	ds_load_b128 v[38:41], v187 offset:7040
	ds_load_b128 v[48:51], v187 offset:1408
	;; [unrolled: 1-line block ×9, first 2 shown]
	s_waitcnt lgkmcnt(5)
	v_mul_f64 v[12:13], v[98:99], v[56:57]
	v_mul_f64 v[0:1], v[78:79], v[34:35]
	;; [unrolled: 1-line block ×7, first 2 shown]
	s_waitcnt lgkmcnt(4)
	v_mul_f64 v[14:15], v[114:115], v[60:61]
	v_mul_f64 v[16:17], v[90:91], v[40:41]
	;; [unrolled: 1-line block ×4, first 2 shown]
	s_waitcnt lgkmcnt(3)
	v_mul_f64 v[22:23], v[94:95], v[66:67]
	v_mul_f64 v[26:27], v[94:95], v[64:65]
	s_waitcnt lgkmcnt(1)
	v_mul_f64 v[30:31], v[110:111], v[72:73]
	s_waitcnt lgkmcnt(0)
	v_mul_f64 v[78:79], v[106:107], v[116:117]
	v_mul_f64 v[86:87], v[102:103], v[68:69]
	;; [unrolled: 1-line block ×5, first 2 shown]
	v_fma_f64 v[12:13], v[96:97], v[58:59], -v[12:13]
	v_fma_f64 v[0:1], v[76:77], v[32:33], v[0:1]
	v_fma_f64 v[2:3], v[76:77], v[34:35], -v[2:3]
	v_fma_f64 v[32:33], v[88:89], v[40:41], -v[4:5]
	;; [unrolled: 1-line block ×4, first 2 shown]
	v_fma_f64 v[6:7], v[80:81], v[48:49], v[10:11]
	v_fma_f64 v[40:41], v[112:113], v[62:63], -v[14:15]
	v_fma_f64 v[34:35], v[88:89], v[38:39], v[16:17]
	v_fma_f64 v[14:15], v[96:97], v[56:57], v[18:19]
	;; [unrolled: 1-line block ×4, first 2 shown]
	v_fma_f64 v[18:19], v[92:93], v[66:67], -v[26:27]
	v_fma_f64 v[22:23], v[108:109], v[74:75], -v[30:31]
	;; [unrolled: 1-line block ×4, first 2 shown]
	v_mul_f64 v[76:77], v[106:107], v[118:119]
	v_fma_f64 v[20:21], v[108:109], v[72:73], v[28:29]
	v_fma_f64 v[28:29], v[100:101], v[68:69], v[82:83]
	;; [unrolled: 1-line block ×3, first 2 shown]
	v_add_f64 v[8:9], v[44:45], v[0:1]
	v_add_f64 v[10:11], v[46:47], v[2:3]
	v_add_f64 v[48:49], v[2:3], -v[32:33]
	v_add_f64 v[2:3], v[2:3], v[32:33]
	v_add_f64 v[50:51], v[4:5], -v[36:37]
	v_add_f64 v[52:53], v[4:5], v[36:37]
	v_add_f64 v[54:55], v[12:13], v[40:41]
	;; [unrolled: 1-line block ×3, first 2 shown]
	v_add_f64 v[0:1], v[0:1], -v[34:35]
	v_add_f64 v[58:59], v[6:7], v[38:39]
	v_add_f64 v[66:67], v[18:19], v[22:23]
	v_add_f64 v[68:69], v[18:19], -v[22:23]
	v_add_f64 v[74:75], v[26:27], v[30:31]
	v_fma_f64 v[24:25], v[104:105], v[116:117], v[76:77]
	v_add_f64 v[64:65], v[16:17], v[20:21]
	v_add_f64 v[70:71], v[16:17], -v[20:21]
	v_add_f64 v[60:61], v[14:15], v[42:43]
	v_add_f64 v[62:63], v[14:15], -v[42:43]
	v_add_f64 v[78:79], v[26:27], -v[30:31]
	v_add_f64 v[8:9], v[8:9], v[6:7]
	v_add_f64 v[4:5], v[10:11], v[4:5]
	v_mul_f64 v[80:81], v[48:49], s[0:1]
	v_mul_f64 v[82:83], v[2:3], s[2:3]
	;; [unrolled: 1-line block ×10, first 2 shown]
	v_add_f64 v[10:11], v[12:13], -v[40:41]
	v_add_f64 v[6:7], v[6:7], -v[38:39]
	v_mul_f64 v[96:97], v[50:51], s[12:13]
	v_mul_f64 v[98:99], v[52:53], s[14:15]
	;; [unrolled: 1-line block ×14, first 2 shown]
	v_add_f64 v[72:73], v[24:25], v[28:29]
	v_add_f64 v[76:77], v[24:25], -v[28:29]
	v_mul_f64 v[54:55], v[54:55], s[26:27]
	v_mul_f64 v[124:125], v[68:69], s[24:25]
	;; [unrolled: 1-line block ×8, first 2 shown]
	v_add_f64 v[8:9], v[8:9], v[14:15]
	v_add_f64 v[4:5], v[4:5], v[12:13]
	v_mul_f64 v[12:13], v[52:53], s[26:27]
	v_mul_f64 v[14:15], v[50:51], s[36:37]
	v_fma_f64 v[156:157], v[56:57], s[14:15], v[84:85]
	v_fma_f64 v[158:159], v[0:1], s[16:17], v[86:87]
	v_fma_f64 v[84:85], v[56:57], s[14:15], -v[84:85]
	v_fma_f64 v[160:161], v[56:57], s[20:21], v[88:89]
	v_fma_f64 v[162:163], v[0:1], s[22:23], v[90:91]
	v_fma_f64 v[88:89], v[56:57], s[20:21], -v[88:89]
	v_fma_f64 v[164:165], v[56:57], s[26:27], v[92:93]
	v_fma_f64 v[166:167], v[0:1], s[28:29], v[94:95]
	v_mul_f64 v[50:51], v[50:51], s[10:11]
	v_mul_f64 v[52:53], v[52:53], s[2:3]
	v_fma_f64 v[92:93], v[56:57], s[26:27], -v[92:93]
	v_fma_f64 v[168:169], v[56:57], s[34:35], v[48:49]
	v_fma_f64 v[170:171], v[0:1], s[36:37], v[2:3]
	v_fma_f64 v[86:87], v[0:1], s[12:13], v[86:87]
	v_fma_f64 v[90:91], v[0:1], s[18:19], v[90:91]
	v_fma_f64 v[94:95], v[0:1], s[24:25], v[94:95]
	v_fma_f64 v[48:49], v[56:57], s[34:35], -v[48:49]
	v_mul_f64 v[108:109], v[10:11], s[18:19]
	v_mul_f64 v[112:113], v[10:11], s[36:37]
	v_fma_f64 v[172:173], v[58:59], s[26:27], v[100:101]
	v_mul_f64 v[116:117], v[10:11], s[16:17]
	v_fma_f64 v[100:101], v[58:59], s[26:27], -v[100:101]
	v_fma_f64 v[178:179], v[6:7], s[30:31], v[102:103]
	v_mul_f64 v[120:121], v[10:11], s[0:1]
	v_fma_f64 v[180:181], v[58:59], s[20:21], v[104:105]
	v_fma_f64 v[182:183], v[6:7], s[18:19], v[106:107]
	v_mul_f64 v[10:11], v[10:11], s[24:25]
	v_fma_f64 v[104:105], v[58:59], s[20:21], -v[104:105]
	v_fma_f64 v[102:103], v[6:7], s[36:37], v[102:103]
	v_fma_f64 v[188:189], v[62:63], s[30:31], v[114:115]
	;; [unrolled: 1-line block ×3, first 2 shown]
	v_mul_f64 v[138:139], v[66:67], s[34:35]
	v_mul_f64 v[68:69], v[68:69], s[16:17]
	;; [unrolled: 1-line block ×3, first 2 shown]
	v_add_f64 v[8:9], v[8:9], v[16:17]
	v_add_f64 v[4:5], v[4:5], v[18:19]
	v_mul_f64 v[16:17], v[74:75], s[20:21]
	v_fma_f64 v[18:19], v[56:57], s[2:3], v[80:81]
	v_fma_f64 v[74:75], v[0:1], s[10:11], v[82:83]
	v_fma_f64 v[80:81], v[56:57], s[2:3], -v[80:81]
	v_fma_f64 v[82:83], v[0:1], s[0:1], v[82:83]
	v_fma_f64 v[0:1], v[0:1], s[30:31], v[2:3]
	;; [unrolled: 1-line block ×4, first 2 shown]
	v_fma_f64 v[96:97], v[58:59], s[14:15], -v[96:97]
	v_fma_f64 v[98:99], v[6:7], s[12:13], v[98:99]
	v_fma_f64 v[174:175], v[6:7], s[28:29], v[12:13]
	v_add_f64 v[156:157], v[44:45], v[156:157]
	v_add_f64 v[158:159], v[46:47], v[158:159]
	v_fma_f64 v[176:177], v[58:59], s[34:35], v[14:15]
	v_add_f64 v[84:85], v[44:45], v[84:85]
	v_add_f64 v[160:161], v[44:45], v[160:161]
	;; [unrolled: 1-line block ×3, first 2 shown]
	v_fma_f64 v[14:15], v[58:59], s[34:35], -v[14:15]
	v_add_f64 v[88:89], v[44:45], v[88:89]
	v_add_f64 v[164:165], v[44:45], v[164:165]
	;; [unrolled: 1-line block ×6, first 2 shown]
	v_fma_f64 v[12:13], v[6:7], s[24:25], v[12:13]
	v_add_f64 v[90:91], v[46:47], v[90:91]
	v_add_f64 v[86:87], v[46:47], v[86:87]
	v_fma_f64 v[184:185], v[60:61], s[34:35], v[112:113]
	v_fma_f64 v[190:191], v[60:61], s[14:15], v[116:117]
	v_fma_f64 v[112:113], v[60:61], s[34:35], -v[112:113]
	v_fma_f64 v[116:117], v[60:61], s[14:15], -v[116:117]
	v_fma_f64 v[118:119], v[62:63], s[16:17], v[118:119]
	v_fma_f64 v[114:115], v[62:63], s[36:37], v[114:115]
	v_mul_f64 v[144:145], v[78:79], s[10:11]
	v_fma_f64 v[194:195], v[64:65], s[20:21], v[128:129]
	v_fma_f64 v[196:197], v[70:71], s[18:19], v[130:131]
	v_add_f64 v[8:9], v[8:9], v[24:25]
	v_add_f64 v[4:5], v[4:5], v[26:27]
	v_fma_f64 v[24:25], v[6:7], s[22:23], v[106:107]
	v_add_f64 v[18:19], v[44:45], v[18:19]
	v_fma_f64 v[26:27], v[58:59], s[2:3], v[50:51]
	v_add_f64 v[80:81], v[44:45], v[80:81]
	v_add_f64 v[82:83], v[46:47], v[82:83]
	v_fma_f64 v[106:107], v[6:7], s[0:1], v[52:53]
	v_fma_f64 v[50:51], v[58:59], s[2:3], -v[50:51]
	v_fma_f64 v[6:7], v[6:7], s[10:11], v[52:53]
	v_add_f64 v[44:45], v[44:45], v[48:49]
	v_add_f64 v[0:1], v[46:47], v[0:1]
	;; [unrolled: 1-line block ×3, first 2 shown]
	v_fma_f64 v[52:53], v[60:61], s[20:21], v[108:109]
	v_fma_f64 v[58:59], v[62:63], s[22:23], v[110:111]
	;; [unrolled: 1-line block ×3, first 2 shown]
	v_add_f64 v[84:85], v[100:101], v[84:85]
	v_fma_f64 v[108:109], v[60:61], s[20:21], -v[108:109]
	v_add_f64 v[100:101], v[178:179], v[162:163]
	v_fma_f64 v[94:95], v[62:63], s[0:1], v[122:123]
	v_add_f64 v[14:15], v[14:15], v[88:89]
	v_add_f64 v[88:89], v[180:181], v[164:165]
	v_mul_f64 v[148:149], v[78:79], s[24:25]
	v_add_f64 v[92:93], v[104:105], v[92:93]
	v_mul_f64 v[140:141], v[78:79], s[30:31]
	v_mul_f64 v[152:153], v[78:79], s[16:17]
	;; [unrolled: 1-line block ×3, first 2 shown]
	v_fma_f64 v[128:129], v[64:65], s[20:21], -v[128:129]
	v_add_f64 v[12:13], v[12:13], v[86:87]
	v_fma_f64 v[86:87], v[70:71], s[36:37], v[138:139]
	v_fma_f64 v[130:131], v[70:71], s[22:23], v[130:131]
	v_add_f64 v[8:9], v[8:9], v[28:29]
	v_add_f64 v[4:5], v[4:5], v[30:31]
	;; [unrolled: 1-line block ×4, first 2 shown]
	v_fma_f64 v[30:31], v[60:61], s[2:3], v[120:121]
	v_add_f64 v[18:19], v[96:97], v[80:81]
	v_add_f64 v[80:81], v[98:99], v[82:83]
	;; [unrolled: 1-line block ×5, first 2 shown]
	v_fma_f64 v[46:47], v[62:63], s[10:11], v[122:123]
	v_add_f64 v[156:157], v[182:183], v[166:167]
	v_fma_f64 v[74:75], v[60:61], s[2:3], -v[120:121]
	v_fma_f64 v[120:121], v[60:61], s[26:27], v[10:11]
	v_fma_f64 v[122:123], v[62:63], s[28:29], v[54:55]
	v_add_f64 v[26:27], v[26:27], v[168:169]
	v_add_f64 v[104:105], v[106:107], v[170:171]
	v_fma_f64 v[10:11], v[60:61], s[26:27], -v[10:11]
	v_fma_f64 v[54:55], v[62:63], s[24:25], v[54:55]
	v_add_f64 v[44:45], v[50:51], v[44:45]
	v_add_f64 v[0:1], v[6:7], v[0:1]
	;; [unrolled: 1-line block ×4, first 2 shown]
	v_fma_f64 v[60:61], v[64:65], s[26:27], v[124:125]
	v_fma_f64 v[62:63], v[70:71], s[28:29], v[126:127]
	;; [unrolled: 1-line block ×3, first 2 shown]
	v_fma_f64 v[124:125], v[64:65], s[26:27], -v[124:125]
	v_fma_f64 v[48:49], v[64:65], s[2:3], -v[132:133]
	v_fma_f64 v[106:107], v[64:65], s[14:15], v[68:69]
	v_fma_f64 v[90:91], v[64:65], s[34:35], -v[136:137]
	v_fma_f64 v[102:103], v[70:71], s[30:31], v[138:139]
	v_fma_f64 v[50:51], v[70:71], s[0:1], v[134:135]
	v_add_f64 v[84:85], v[112:113], v[84:85]
	v_add_f64 v[14:15], v[116:117], v[14:15]
	;; [unrolled: 1-line block ×3, first 2 shown]
	v_fma_f64 v[112:113], v[76:77], s[12:13], v[154:155]
	v_fma_f64 v[114:115], v[72:73], s[14:15], -v[152:153]
	v_fma_f64 v[116:117], v[76:77], s[16:17], v[154:155]
	v_add_f64 v[8:9], v[8:9], v[20:21]
	v_add_f64 v[4:5], v[4:5], v[22:23]
	;; [unrolled: 1-line block ×4, first 2 shown]
	v_fma_f64 v[22:23], v[64:65], s[2:3], v[132:133]
	v_fma_f64 v[28:29], v[70:71], s[10:11], v[134:135]
	v_add_f64 v[52:53], v[110:111], v[80:81]
	v_add_f64 v[80:81], v[184:185], v[82:83]
	;; [unrolled: 1-line block ×5, first 2 shown]
	v_fma_f64 v[56:57], v[64:65], s[34:35], v[136:137]
	v_add_f64 v[30:31], v[30:31], v[88:89]
	v_add_f64 v[46:47], v[46:47], v[156:157]
	v_fma_f64 v[132:133], v[70:71], s[12:13], v[66:67]
	v_add_f64 v[18:19], v[108:109], v[18:19]
	v_add_f64 v[26:27], v[120:121], v[26:27]
	v_add_f64 v[88:89], v[122:123], v[104:105]
	v_fma_f64 v[64:65], v[64:65], s[14:15], -v[68:69]
	v_fma_f64 v[66:67], v[70:71], s[16:17], v[66:67]
	v_add_f64 v[74:75], v[74:75], v[92:93]
	v_add_f64 v[10:11], v[10:11], v[44:45]
	;; [unrolled: 1-line block ×5, first 2 shown]
	v_fma_f64 v[44:45], v[72:73], s[2:3], v[144:145]
	v_fma_f64 v[54:55], v[76:77], s[0:1], v[146:147]
	;; [unrolled: 1-line block ×5, first 2 shown]
	v_fma_f64 v[70:71], v[72:73], s[34:35], -v[140:141]
	v_fma_f64 v[104:105], v[72:73], s[26:27], -v[148:149]
	v_fma_f64 v[110:111], v[72:73], s[14:15], v[152:153]
	v_fma_f64 v[118:119], v[72:73], s[20:21], v[78:79]
	;; [unrolled: 1-line block ×6, first 2 shown]
	v_add_f64 v[8:9], v[8:9], v[42:43]
	v_add_f64 v[4:5], v[4:5], v[40:41]
	;; [unrolled: 1-line block ×4, first 2 shown]
	v_fma_f64 v[58:59], v[72:73], s[2:3], -v[144:145]
	v_fma_f64 v[72:73], v[72:73], s[20:21], -v[78:79]
	v_add_f64 v[42:43], v[126:127], v[52:53]
	v_add_f64 v[52:53], v[194:195], v[80:81]
	;; [unrolled: 1-line block ×5, first 2 shown]
	v_fma_f64 v[92:93], v[76:77], s[10:11], v[146:147]
	v_add_f64 v[30:31], v[56:57], v[30:31]
	v_add_f64 v[78:79], v[86:87], v[46:47]
	v_fma_f64 v[108:109], v[76:77], s[24:25], v[150:151]
	v_add_f64 v[18:19], v[124:125], v[18:19]
	v_add_f64 v[26:27], v[106:107], v[26:27]
	;; [unrolled: 1-line block ×11, first 2 shown]
	s_mul_i32 s1, s5, 0x79
	s_mov_b32 s2, 0x6be69c90
	s_mov_b32 s3, 0x3f60ecf5
	s_mul_hi_u32 s11, s4, 0xfffffec1
	s_mul_i32 s10, s4, 0xfffffec1
	v_add_f64 v[8:9], v[8:9], v[38:39]
	v_add_f64 v[4:5], v[4:5], v[36:37]
	;; [unrolled: 1-line block ×25, first 2 shown]
	ds_store_b128 v187, v[44:47] offset:1408
	ds_store_b128 v187, v[52:55] offset:2112
	;; [unrolled: 1-line block ×9, first 2 shown]
	ds_store_b128 v187, v[76:79]
	ds_store_b128 v187, v[36:39] offset:704
	s_waitcnt lgkmcnt(0)
	s_barrier
	buffer_gl0_inv
	ds_load_b128 v[32:35], v187
	ds_load_b128 v[36:39], v187 offset:1936
	ds_load_b128 v[40:43], v187 offset:3872
	;; [unrolled: 1-line block ×7, first 2 shown]
	s_clause 0x4
	scratch_load_b128 v[87:90], off, off offset:120
	scratch_load_b128 v[75:78], off, off offset:56
	;; [unrolled: 1-line block ×4, first 2 shown]
	scratch_load_b64 v[64:65], off, off offset:24
	v_mad_u64_u32 v[66:67], null, s4, v255, 0
	s_waitcnt vmcnt(4) lgkmcnt(4)
	v_mul_f64 v[12:13], v[89:90], v[46:47]
	v_mul_f64 v[14:15], v[89:90], v[44:45]
	scratch_load_b128 v[89:92], off, off offset:136 ; 16-byte Folded Reload
	s_waitcnt vmcnt(4)
	v_mul_f64 v[0:1], v[77:78], v[34:35]
	v_mul_f64 v[2:3], v[77:78], v[32:33]
	scratch_load_b128 v[77:80], off, off offset:72 ; 16-byte Folded Reload
	s_waitcnt vmcnt(4)
	;; [unrolled: 4-line block ×3, first 2 shown]
	v_mul_f64 v[8:9], v[73:74], v[42:43]
	v_mul_f64 v[10:11], v[73:74], v[40:41]
	s_waitcnt vmcnt(3)
	v_mov_b32_e32 v70, v64
	s_delay_alu instid0(VALU_DEP_1) | instskip(SKIP_1) | instid1(VALU_DEP_1)
	v_mad_u64_u32 v[64:65], null, s6, v70, 0
	s_mul_i32 s6, s4, 0x79
	v_mad_u64_u32 v[68:69], null, s7, v70, v[65:66]
	v_mov_b32_e32 v65, v67
	s_mul_hi_u32 s7, s4, 0x79
	s_delay_alu instid0(SALU_CYCLE_1) | instskip(SKIP_1) | instid1(VALU_DEP_1)
	s_add_i32 s7, s7, s1
	s_sub_i32 s1, s11, s4
	v_mad_u64_u32 v[69:70], null, s5, v255, v[65:66]
	s_delay_alu instid0(VALU_DEP_3) | instskip(SKIP_2) | instid1(SALU_CYCLE_1)
	v_mov_b32_e32 v65, v68
	s_lshl_b64 s[6:7], s[6:7], 4
	s_mulk_i32 s5, 0xfec1
	s_add_i32 s11, s1, s5
	s_delay_alu instid0(VALU_DEP_2)
	v_mov_b32_e32 v67, v69
	s_lshl_b64 s[4:5], s[10:11], 4
	v_fma_f64 v[0:1], v[75:76], v[32:33], v[0:1]
	v_fma_f64 v[32:33], v[75:76], v[34:35], -v[2:3]
	v_lshlrev_b64 v[2:3], 4, v[64:65]
	v_fma_f64 v[34:35], v[81:82], v[36:37], v[4:5]
	v_fma_f64 v[36:37], v[81:82], v[38:39], -v[6:7]
	v_lshlrev_b64 v[4:5], 4, v[66:67]
	v_fma_f64 v[38:39], v[71:72], v[40:41], v[8:9]
	v_fma_f64 v[40:41], v[71:72], v[42:43], -v[10:11]
	v_fma_f64 v[42:43], v[87:88], v[44:45], v[12:13]
	v_fma_f64 v[44:45], v[87:88], v[46:47], -v[14:15]
	v_add_co_u32 v2, s0, s8, v2
	s_delay_alu instid0(VALU_DEP_1)
	v_add_co_ci_u32_e64 v3, s0, s9, v3, s0
	v_mul_f64 v[6:7], v[34:35], s[2:3]
	v_mul_f64 v[8:9], v[36:37], s[2:3]
	;; [unrolled: 1-line block ×5, first 2 shown]
	s_waitcnt vmcnt(2) lgkmcnt(1)
	v_mul_f64 v[24:25], v[91:92], v[58:59]
	v_mul_f64 v[26:27], v[91:92], v[56:57]
	scratch_load_b128 v[91:94], off, off offset:152 ; 16-byte Folded Reload
	s_waitcnt vmcnt(2)
	v_mul_f64 v[16:17], v[79:80], v[50:51]
	v_mul_f64 v[18:19], v[79:80], v[48:49]
	s_waitcnt vmcnt(1)
	v_mul_f64 v[20:21], v[85:86], v[54:55]
	v_mul_f64 v[22:23], v[85:86], v[52:53]
	s_delay_alu instid0(VALU_DEP_4) | instskip(NEXT) | instid1(VALU_DEP_4)
	v_fma_f64 v[46:47], v[77:78], v[48:49], v[16:17]
	v_fma_f64 v[48:49], v[77:78], v[50:51], -v[18:19]
	v_mul_f64 v[16:17], v[44:45], s[2:3]
	v_fma_f64 v[50:51], v[83:84], v[52:53], v[20:21]
	v_fma_f64 v[52:53], v[83:84], v[54:55], -v[22:23]
	v_fma_f64 v[54:55], v[89:90], v[56:57], v[24:25]
	v_fma_f64 v[56:57], v[89:90], v[58:59], -v[26:27]
	v_mul_f64 v[18:19], v[46:47], s[2:3]
	v_mul_f64 v[20:21], v[48:49], s[2:3]
	v_mul_f64 v[22:23], v[50:51], s[2:3]
	v_mul_f64 v[24:25], v[52:53], s[2:3]
	v_mul_f64 v[26:27], v[54:55], s[2:3]
	s_waitcnt vmcnt(0) lgkmcnt(0)
	v_mul_f64 v[28:29], v[93:94], v[62:63]
	v_mul_f64 v[30:31], v[93:94], v[60:61]
	s_delay_alu instid0(VALU_DEP_2) | instskip(NEXT) | instid1(VALU_DEP_2)
	v_fma_f64 v[58:59], v[91:92], v[60:61], v[28:29]
	v_fma_f64 v[60:61], v[91:92], v[62:63], -v[30:31]
	v_add_co_u32 v62, s0, v2, v4
	s_delay_alu instid0(VALU_DEP_1) | instskip(SKIP_2) | instid1(VALU_DEP_4)
	v_add_co_ci_u32_e64 v63, s0, v3, v5, s0
	v_mul_f64 v[2:3], v[0:1], s[2:3]
	v_mul_f64 v[4:5], v[32:33], s[2:3]
	v_add_co_u32 v64, s0, v62, s6
	s_delay_alu instid0(VALU_DEP_1) | instskip(SKIP_1) | instid1(VALU_DEP_3)
	v_add_co_ci_u32_e64 v65, s0, s7, v63, s0
	v_mul_f64 v[28:29], v[56:57], s[2:3]
	v_add_co_u32 v34, s0, v64, s6
	s_delay_alu instid0(VALU_DEP_1) | instskip(NEXT) | instid1(VALU_DEP_2)
	v_add_co_ci_u32_e64 v35, s0, s7, v65, s0
	v_add_co_u32 v36, s0, v34, s6
	s_delay_alu instid0(VALU_DEP_1) | instskip(NEXT) | instid1(VALU_DEP_2)
	v_add_co_ci_u32_e64 v37, s0, s7, v35, s0
	;; [unrolled: 3-line block ×4, first 2 shown]
	v_add_co_u32 v42, s0, v40, s6
	s_delay_alu instid0(VALU_DEP_1) | instskip(SKIP_2) | instid1(VALU_DEP_4)
	v_add_co_ci_u32_e64 v43, s0, s7, v41, s0
	v_mul_f64 v[30:31], v[58:59], s[2:3]
	v_mul_f64 v[32:33], v[60:61], s[2:3]
	v_add_co_u32 v0, s0, v42, s6
	s_delay_alu instid0(VALU_DEP_1)
	v_add_co_ci_u32_e64 v1, s0, s7, v43, s0
	s_clause 0x4
	global_store_b128 v[62:63], v[2:5], off
	global_store_b128 v[64:65], v[6:9], off
	global_store_b128 v[34:35], v[10:13], off
	global_store_b128 v[36:37], v[14:17], off
	global_store_b128 v[38:39], v[18:21], off
	global_store_b128 v[40:41], v[22:25], off
	global_store_b128 v[42:43], v[26:29], off
	global_store_b128 v[0:1], v[30:33], off
	s_and_b32 exec_lo, exec_lo, vcc_lo
	s_cbranch_execz .LBB0_15
; %bb.14:
	s_clause 0x3
	global_load_b128 v[2:5], v[217:218], off offset:1408
	global_load_b128 v[6:9], v[217:218], off offset:3344
	;; [unrolled: 1-line block ×4, first 2 shown]
	ds_load_b128 v[18:21], v187 offset:1408
	ds_load_b128 v[22:25], v187 offset:3344
	;; [unrolled: 1-line block ×4, first 2 shown]
	v_add_co_u32 v0, vcc_lo, v0, s4
	v_add_co_ci_u32_e32 v1, vcc_lo, s5, v1, vcc_lo
	s_waitcnt vmcnt(3) lgkmcnt(3)
	v_mul_f64 v[34:35], v[20:21], v[4:5]
	v_mul_f64 v[4:5], v[18:19], v[4:5]
	s_waitcnt vmcnt(2) lgkmcnt(2)
	v_mul_f64 v[36:37], v[24:25], v[8:9]
	v_mul_f64 v[8:9], v[22:23], v[8:9]
	;; [unrolled: 3-line block ×4, first 2 shown]
	v_fma_f64 v[18:19], v[18:19], v[2:3], v[34:35]
	v_fma_f64 v[4:5], v[2:3], v[20:21], -v[4:5]
	v_fma_f64 v[20:21], v[22:23], v[6:7], v[36:37]
	v_fma_f64 v[8:9], v[6:7], v[24:25], -v[8:9]
	;; [unrolled: 2-line block ×4, first 2 shown]
	v_mul_f64 v[2:3], v[18:19], s[2:3]
	v_mul_f64 v[4:5], v[4:5], s[2:3]
	;; [unrolled: 1-line block ×8, first 2 shown]
	v_add_co_u32 v18, vcc_lo, v0, s6
	v_add_co_ci_u32_e32 v19, vcc_lo, s7, v1, vcc_lo
	s_delay_alu instid0(VALU_DEP_2) | instskip(NEXT) | instid1(VALU_DEP_2)
	v_add_co_u32 v20, vcc_lo, v18, s6
	v_add_co_ci_u32_e32 v21, vcc_lo, s7, v19, vcc_lo
	s_delay_alu instid0(VALU_DEP_2) | instskip(NEXT) | instid1(VALU_DEP_2)
	v_add_co_u32 v22, vcc_lo, v20, s6
	v_add_co_ci_u32_e32 v23, vcc_lo, s7, v21, vcc_lo
	global_store_b128 v[0:1], v[2:5], off
	global_store_b128 v[18:19], v[6:9], off
	;; [unrolled: 1-line block ×4, first 2 shown]
.LBB0_15:
	s_nop 0
	s_sendmsg sendmsg(MSG_DEALLOC_VGPRS)
	s_endpgm
	.section	.rodata,"a",@progbits
	.p2align	6, 0x0
	.amdhsa_kernel bluestein_single_fwd_len484_dim1_dp_op_CI_CI
		.amdhsa_group_segment_fixed_size 7744
		.amdhsa_private_segment_fixed_size 208
		.amdhsa_kernarg_size 104
		.amdhsa_user_sgpr_count 15
		.amdhsa_user_sgpr_dispatch_ptr 0
		.amdhsa_user_sgpr_queue_ptr 0
		.amdhsa_user_sgpr_kernarg_segment_ptr 1
		.amdhsa_user_sgpr_dispatch_id 0
		.amdhsa_user_sgpr_private_segment_size 0
		.amdhsa_wavefront_size32 1
		.amdhsa_uses_dynamic_stack 0
		.amdhsa_enable_private_segment 1
		.amdhsa_system_sgpr_workgroup_id_x 1
		.amdhsa_system_sgpr_workgroup_id_y 0
		.amdhsa_system_sgpr_workgroup_id_z 0
		.amdhsa_system_sgpr_workgroup_info 0
		.amdhsa_system_vgpr_workitem_id 0
		.amdhsa_next_free_vgpr 256
		.amdhsa_next_free_sgpr 38
		.amdhsa_reserve_vcc 1
		.amdhsa_float_round_mode_32 0
		.amdhsa_float_round_mode_16_64 0
		.amdhsa_float_denorm_mode_32 3
		.amdhsa_float_denorm_mode_16_64 3
		.amdhsa_dx10_clamp 1
		.amdhsa_ieee_mode 1
		.amdhsa_fp16_overflow 0
		.amdhsa_workgroup_processor_mode 1
		.amdhsa_memory_ordered 1
		.amdhsa_forward_progress 0
		.amdhsa_shared_vgpr_count 0
		.amdhsa_exception_fp_ieee_invalid_op 0
		.amdhsa_exception_fp_denorm_src 0
		.amdhsa_exception_fp_ieee_div_zero 0
		.amdhsa_exception_fp_ieee_overflow 0
		.amdhsa_exception_fp_ieee_underflow 0
		.amdhsa_exception_fp_ieee_inexact 0
		.amdhsa_exception_int_div_zero 0
	.end_amdhsa_kernel
	.text
.Lfunc_end0:
	.size	bluestein_single_fwd_len484_dim1_dp_op_CI_CI, .Lfunc_end0-bluestein_single_fwd_len484_dim1_dp_op_CI_CI
                                        ; -- End function
	.section	.AMDGPU.csdata,"",@progbits
; Kernel info:
; codeLenInByte = 17824
; NumSgprs: 40
; NumVgprs: 256
; ScratchSize: 208
; MemoryBound: 0
; FloatMode: 240
; IeeeMode: 1
; LDSByteSize: 7744 bytes/workgroup (compile time only)
; SGPRBlocks: 4
; VGPRBlocks: 31
; NumSGPRsForWavesPerEU: 40
; NumVGPRsForWavesPerEU: 256
; Occupancy: 5
; WaveLimiterHint : 1
; COMPUTE_PGM_RSRC2:SCRATCH_EN: 1
; COMPUTE_PGM_RSRC2:USER_SGPR: 15
; COMPUTE_PGM_RSRC2:TRAP_HANDLER: 0
; COMPUTE_PGM_RSRC2:TGID_X_EN: 1
; COMPUTE_PGM_RSRC2:TGID_Y_EN: 0
; COMPUTE_PGM_RSRC2:TGID_Z_EN: 0
; COMPUTE_PGM_RSRC2:TIDIG_COMP_CNT: 0
	.text
	.p2alignl 7, 3214868480
	.fill 96, 4, 3214868480
	.type	__hip_cuid_566d747db47d9077,@object ; @__hip_cuid_566d747db47d9077
	.section	.bss,"aw",@nobits
	.globl	__hip_cuid_566d747db47d9077
__hip_cuid_566d747db47d9077:
	.byte	0                               ; 0x0
	.size	__hip_cuid_566d747db47d9077, 1

	.ident	"AMD clang version 19.0.0git (https://github.com/RadeonOpenCompute/llvm-project roc-6.4.0 25133 c7fe45cf4b819c5991fe208aaa96edf142730f1d)"
	.section	".note.GNU-stack","",@progbits
	.addrsig
	.addrsig_sym __hip_cuid_566d747db47d9077
	.amdgpu_metadata
---
amdhsa.kernels:
  - .args:
      - .actual_access:  read_only
        .address_space:  global
        .offset:         0
        .size:           8
        .value_kind:     global_buffer
      - .actual_access:  read_only
        .address_space:  global
        .offset:         8
        .size:           8
        .value_kind:     global_buffer
      - .actual_access:  read_only
        .address_space:  global
        .offset:         16
        .size:           8
        .value_kind:     global_buffer
      - .actual_access:  read_only
        .address_space:  global
        .offset:         24
        .size:           8
        .value_kind:     global_buffer
      - .actual_access:  read_only
        .address_space:  global
        .offset:         32
        .size:           8
        .value_kind:     global_buffer
      - .offset:         40
        .size:           8
        .value_kind:     by_value
      - .address_space:  global
        .offset:         48
        .size:           8
        .value_kind:     global_buffer
      - .address_space:  global
        .offset:         56
        .size:           8
        .value_kind:     global_buffer
      - .address_space:  global
        .offset:         64
        .size:           8
        .value_kind:     global_buffer
      - .address_space:  global
        .offset:         72
        .size:           8
        .value_kind:     global_buffer
      - .offset:         80
        .size:           4
        .value_kind:     by_value
      - .address_space:  global
        .offset:         88
        .size:           8
        .value_kind:     global_buffer
      - .address_space:  global
        .offset:         96
        .size:           8
        .value_kind:     global_buffer
    .group_segment_fixed_size: 7744
    .kernarg_segment_align: 8
    .kernarg_segment_size: 104
    .language:       OpenCL C
    .language_version:
      - 2
      - 0
    .max_flat_workgroup_size: 44
    .name:           bluestein_single_fwd_len484_dim1_dp_op_CI_CI
    .private_segment_fixed_size: 208
    .sgpr_count:     40
    .sgpr_spill_count: 0
    .symbol:         bluestein_single_fwd_len484_dim1_dp_op_CI_CI.kd
    .uniform_work_group_size: 1
    .uses_dynamic_stack: false
    .vgpr_count:     256
    .vgpr_spill_count: 55
    .wavefront_size: 32
    .workgroup_processor_mode: 1
amdhsa.target:   amdgcn-amd-amdhsa--gfx1100
amdhsa.version:
  - 1
  - 2
...

	.end_amdgpu_metadata
